;; amdgpu-corpus repo=ROCm/rocFFT kind=compiled arch=gfx1030 opt=O3
	.text
	.amdgcn_target "amdgcn-amd-amdhsa--gfx1030"
	.amdhsa_code_object_version 6
	.protected	fft_rtc_fwd_len1365_factors_13_7_5_3_wgs_182_tpt_91_halfLds_sp_ip_CI_unitstride_sbrr_dirReg ; -- Begin function fft_rtc_fwd_len1365_factors_13_7_5_3_wgs_182_tpt_91_halfLds_sp_ip_CI_unitstride_sbrr_dirReg
	.globl	fft_rtc_fwd_len1365_factors_13_7_5_3_wgs_182_tpt_91_halfLds_sp_ip_CI_unitstride_sbrr_dirReg
	.p2align	8
	.type	fft_rtc_fwd_len1365_factors_13_7_5_3_wgs_182_tpt_91_halfLds_sp_ip_CI_unitstride_sbrr_dirReg,@function
fft_rtc_fwd_len1365_factors_13_7_5_3_wgs_182_tpt_91_halfLds_sp_ip_CI_unitstride_sbrr_dirReg: ; @fft_rtc_fwd_len1365_factors_13_7_5_3_wgs_182_tpt_91_halfLds_sp_ip_CI_unitstride_sbrr_dirReg
; %bb.0:
	s_clause 0x2
	s_load_dwordx4 s[8:11], s[4:5], 0x0
	s_load_dwordx2 s[2:3], s[4:5], 0x50
	s_load_dwordx2 s[12:13], s[4:5], 0x18
	v_mul_u32_u24_e32 v1, 0x2d1, v0
	v_mov_b32_e32 v3, 0
	v_lshrrev_b32_e32 v66, 16, v1
	v_mov_b32_e32 v1, 0
	v_mov_b32_e32 v6, v3
	v_mov_b32_e32 v2, 0
	v_lshl_add_u32 v5, s6, 1, v66
	s_waitcnt lgkmcnt(0)
	v_cmp_lt_u64_e64 s0, s[10:11], 2
	s_and_b32 vcc_lo, exec_lo, s0
	s_cbranch_vccnz .LBB0_8
; %bb.1:
	s_load_dwordx2 s[0:1], s[4:5], 0x10
	v_mov_b32_e32 v1, 0
	s_add_u32 s6, s12, 8
	v_mov_b32_e32 v2, 0
	s_addc_u32 s7, s13, 0
	s_mov_b64 s[16:17], 1
	s_waitcnt lgkmcnt(0)
	s_add_u32 s14, s0, 8
	s_addc_u32 s15, s1, 0
.LBB0_2:                                ; =>This Inner Loop Header: Depth=1
	s_load_dwordx2 s[18:19], s[14:15], 0x0
                                        ; implicit-def: $vgpr7_vgpr8
	s_mov_b32 s0, exec_lo
	s_waitcnt lgkmcnt(0)
	v_or_b32_e32 v4, s19, v6
	v_cmpx_ne_u64_e32 0, v[3:4]
	s_xor_b32 s1, exec_lo, s0
	s_cbranch_execz .LBB0_4
; %bb.3:                                ;   in Loop: Header=BB0_2 Depth=1
	v_cvt_f32_u32_e32 v4, s18
	v_cvt_f32_u32_e32 v7, s19
	s_sub_u32 s0, 0, s18
	s_subb_u32 s20, 0, s19
	v_fmac_f32_e32 v4, 0x4f800000, v7
	v_rcp_f32_e32 v4, v4
	v_mul_f32_e32 v4, 0x5f7ffffc, v4
	v_mul_f32_e32 v7, 0x2f800000, v4
	v_trunc_f32_e32 v7, v7
	v_fmac_f32_e32 v4, 0xcf800000, v7
	v_cvt_u32_f32_e32 v7, v7
	v_cvt_u32_f32_e32 v4, v4
	v_mul_lo_u32 v8, s0, v7
	v_mul_hi_u32 v9, s0, v4
	v_mul_lo_u32 v10, s20, v4
	v_add_nc_u32_e32 v8, v9, v8
	v_mul_lo_u32 v9, s0, v4
	v_add_nc_u32_e32 v8, v8, v10
	v_mul_hi_u32 v10, v4, v9
	v_mul_lo_u32 v11, v4, v8
	v_mul_hi_u32 v12, v4, v8
	v_mul_hi_u32 v13, v7, v9
	v_mul_lo_u32 v9, v7, v9
	v_mul_hi_u32 v14, v7, v8
	v_mul_lo_u32 v8, v7, v8
	v_add_co_u32 v10, vcc_lo, v10, v11
	v_add_co_ci_u32_e32 v11, vcc_lo, 0, v12, vcc_lo
	v_add_co_u32 v9, vcc_lo, v10, v9
	v_add_co_ci_u32_e32 v9, vcc_lo, v11, v13, vcc_lo
	v_add_co_ci_u32_e32 v10, vcc_lo, 0, v14, vcc_lo
	v_add_co_u32 v8, vcc_lo, v9, v8
	v_add_co_ci_u32_e32 v9, vcc_lo, 0, v10, vcc_lo
	v_add_co_u32 v4, vcc_lo, v4, v8
	v_add_co_ci_u32_e32 v7, vcc_lo, v7, v9, vcc_lo
	v_mul_hi_u32 v8, s0, v4
	v_mul_lo_u32 v10, s20, v4
	v_mul_lo_u32 v9, s0, v7
	v_add_nc_u32_e32 v8, v8, v9
	v_mul_lo_u32 v9, s0, v4
	v_add_nc_u32_e32 v8, v8, v10
	v_mul_hi_u32 v10, v4, v9
	v_mul_lo_u32 v11, v4, v8
	v_mul_hi_u32 v12, v4, v8
	v_mul_hi_u32 v13, v7, v9
	v_mul_lo_u32 v9, v7, v9
	v_mul_hi_u32 v14, v7, v8
	v_mul_lo_u32 v8, v7, v8
	v_add_co_u32 v10, vcc_lo, v10, v11
	v_add_co_ci_u32_e32 v11, vcc_lo, 0, v12, vcc_lo
	v_add_co_u32 v9, vcc_lo, v10, v9
	v_add_co_ci_u32_e32 v9, vcc_lo, v11, v13, vcc_lo
	v_add_co_ci_u32_e32 v10, vcc_lo, 0, v14, vcc_lo
	v_add_co_u32 v8, vcc_lo, v9, v8
	v_add_co_ci_u32_e32 v9, vcc_lo, 0, v10, vcc_lo
	v_add_co_u32 v4, vcc_lo, v4, v8
	v_add_co_ci_u32_e32 v11, vcc_lo, v7, v9, vcc_lo
	v_mul_hi_u32 v13, v5, v4
	v_mad_u64_u32 v[9:10], null, v6, v4, 0
	v_mad_u64_u32 v[7:8], null, v5, v11, 0
	;; [unrolled: 1-line block ×3, first 2 shown]
	v_add_co_u32 v4, vcc_lo, v13, v7
	v_add_co_ci_u32_e32 v7, vcc_lo, 0, v8, vcc_lo
	v_add_co_u32 v4, vcc_lo, v4, v9
	v_add_co_ci_u32_e32 v4, vcc_lo, v7, v10, vcc_lo
	v_add_co_ci_u32_e32 v7, vcc_lo, 0, v12, vcc_lo
	v_add_co_u32 v4, vcc_lo, v4, v11
	v_add_co_ci_u32_e32 v9, vcc_lo, 0, v7, vcc_lo
	v_mul_lo_u32 v10, s19, v4
	v_mad_u64_u32 v[7:8], null, s18, v4, 0
	v_mul_lo_u32 v11, s18, v9
	v_sub_co_u32 v7, vcc_lo, v5, v7
	v_add3_u32 v8, v8, v11, v10
	v_sub_nc_u32_e32 v10, v6, v8
	v_subrev_co_ci_u32_e64 v10, s0, s19, v10, vcc_lo
	v_add_co_u32 v11, s0, v4, 2
	v_add_co_ci_u32_e64 v12, s0, 0, v9, s0
	v_sub_co_u32 v13, s0, v7, s18
	v_sub_co_ci_u32_e32 v8, vcc_lo, v6, v8, vcc_lo
	v_subrev_co_ci_u32_e64 v10, s0, 0, v10, s0
	v_cmp_le_u32_e32 vcc_lo, s18, v13
	v_cmp_eq_u32_e64 s0, s19, v8
	v_cndmask_b32_e64 v13, 0, -1, vcc_lo
	v_cmp_le_u32_e32 vcc_lo, s19, v10
	v_cndmask_b32_e64 v14, 0, -1, vcc_lo
	v_cmp_le_u32_e32 vcc_lo, s18, v7
	;; [unrolled: 2-line block ×3, first 2 shown]
	v_cndmask_b32_e64 v15, 0, -1, vcc_lo
	v_cmp_eq_u32_e32 vcc_lo, s19, v10
	v_cndmask_b32_e64 v7, v15, v7, s0
	v_cndmask_b32_e32 v10, v14, v13, vcc_lo
	v_add_co_u32 v13, vcc_lo, v4, 1
	v_add_co_ci_u32_e32 v14, vcc_lo, 0, v9, vcc_lo
	v_cmp_ne_u32_e32 vcc_lo, 0, v10
	v_cndmask_b32_e32 v8, v14, v12, vcc_lo
	v_cndmask_b32_e32 v10, v13, v11, vcc_lo
	v_cmp_ne_u32_e32 vcc_lo, 0, v7
	v_cndmask_b32_e32 v8, v9, v8, vcc_lo
	v_cndmask_b32_e32 v7, v4, v10, vcc_lo
.LBB0_4:                                ;   in Loop: Header=BB0_2 Depth=1
	s_andn2_saveexec_b32 s0, s1
	s_cbranch_execz .LBB0_6
; %bb.5:                                ;   in Loop: Header=BB0_2 Depth=1
	v_cvt_f32_u32_e32 v4, s18
	s_sub_i32 s1, 0, s18
	v_rcp_iflag_f32_e32 v4, v4
	v_mul_f32_e32 v4, 0x4f7ffffe, v4
	v_cvt_u32_f32_e32 v4, v4
	v_mul_lo_u32 v7, s1, v4
	v_mul_hi_u32 v7, v4, v7
	v_add_nc_u32_e32 v4, v4, v7
	v_mul_hi_u32 v4, v5, v4
	v_mul_lo_u32 v7, v4, s18
	v_add_nc_u32_e32 v8, 1, v4
	v_sub_nc_u32_e32 v7, v5, v7
	v_subrev_nc_u32_e32 v9, s18, v7
	v_cmp_le_u32_e32 vcc_lo, s18, v7
	v_cndmask_b32_e32 v7, v7, v9, vcc_lo
	v_cndmask_b32_e32 v4, v4, v8, vcc_lo
	v_cmp_le_u32_e32 vcc_lo, s18, v7
	v_add_nc_u32_e32 v8, 1, v4
	v_cndmask_b32_e32 v7, v4, v8, vcc_lo
	v_mov_b32_e32 v8, v3
.LBB0_6:                                ;   in Loop: Header=BB0_2 Depth=1
	s_or_b32 exec_lo, exec_lo, s0
	s_load_dwordx2 s[0:1], s[6:7], 0x0
	v_mul_lo_u32 v4, v8, s18
	v_mul_lo_u32 v11, v7, s19
	v_mad_u64_u32 v[9:10], null, v7, s18, 0
	s_add_u32 s16, s16, 1
	s_addc_u32 s17, s17, 0
	s_add_u32 s6, s6, 8
	s_addc_u32 s7, s7, 0
	;; [unrolled: 2-line block ×3, first 2 shown]
	v_add3_u32 v4, v10, v11, v4
	v_sub_co_u32 v5, vcc_lo, v5, v9
	v_sub_co_ci_u32_e32 v4, vcc_lo, v6, v4, vcc_lo
	s_waitcnt lgkmcnt(0)
	v_mul_lo_u32 v6, s1, v5
	v_mul_lo_u32 v4, s0, v4
	v_mad_u64_u32 v[1:2], null, s0, v5, v[1:2]
	v_cmp_ge_u64_e64 s0, s[16:17], s[10:11]
	s_and_b32 vcc_lo, exec_lo, s0
	v_add3_u32 v2, v6, v2, v4
	s_cbranch_vccnz .LBB0_9
; %bb.7:                                ;   in Loop: Header=BB0_2 Depth=1
	v_mov_b32_e32 v5, v7
	v_mov_b32_e32 v6, v8
	s_branch .LBB0_2
.LBB0_8:
	v_mov_b32_e32 v8, v6
	v_mov_b32_e32 v7, v5
.LBB0_9:
	s_lshl_b64 s[0:1], s[10:11], 3
	v_mul_hi_u32 v3, 0x2d02d03, v0
	s_add_u32 s0, s12, s0
	s_addc_u32 s1, s13, s1
                                        ; implicit-def: $vgpr51
                                        ; implicit-def: $vgpr61
                                        ; implicit-def: $vgpr59
                                        ; implicit-def: $vgpr49
                                        ; implicit-def: $vgpr45
                                        ; implicit-def: $vgpr39
                                        ; implicit-def: $vgpr35
                                        ; implicit-def: $vgpr37
                                        ; implicit-def: $vgpr41
                                        ; implicit-def: $vgpr47
                                        ; implicit-def: $vgpr55
                                        ; implicit-def: $vgpr25
                                        ; implicit-def: $vgpr21
                                        ; implicit-def: $vgpr19
                                        ; implicit-def: $vgpr17
                                        ; implicit-def: $vgpr15
                                        ; implicit-def: $vgpr13
                                        ; implicit-def: $vgpr9
                                        ; implicit-def: $vgpr11
                                        ; implicit-def: $vgpr27
                                        ; implicit-def: $vgpr29
                                        ; implicit-def: $vgpr23
                                        ; implicit-def: $vgpr57
                                        ; implicit-def: $vgpr53
	s_load_dwordx2 s[0:1], s[0:1], 0x0
	s_load_dwordx2 s[4:5], s[4:5], 0x20
	v_mul_u32_u24_e32 v3, 0x5b, v3
	v_sub_nc_u32_e32 v0, v0, v3
	s_waitcnt lgkmcnt(0)
	v_mul_lo_u32 v4, s0, v8
	v_mul_lo_u32 v5, s1, v7
	v_mad_u64_u32 v[1:2], null, s0, v7, v[1:2]
	v_cmp_gt_u64_e32 vcc_lo, s[4:5], v[7:8]
                                        ; implicit-def: $vgpr7
	v_add3_u32 v2, v5, v2, v4
	v_mov_b32_e32 v5, 0
	v_lshlrev_b64 v[2:3], 3, v[1:2]
	v_mov_b32_e32 v1, 0
	s_and_saveexec_b32 s1, vcc_lo
	s_cbranch_execz .LBB0_13
; %bb.10:
	v_mov_b32_e32 v1, 0
	v_add_co_u32 v6, s0, s2, v2
	v_add_co_ci_u32_e64 v7, s0, s3, v3, s0
	v_lshlrev_b64 v[4:5], 3, v[0:1]
	s_mov_b32 s4, exec_lo
                                        ; implicit-def: $vgpr22
                                        ; implicit-def: $vgpr28
                                        ; implicit-def: $vgpr26
                                        ; implicit-def: $vgpr10
                                        ; implicit-def: $vgpr8
                                        ; implicit-def: $vgpr12
                                        ; implicit-def: $vgpr14
                                        ; implicit-def: $vgpr16
                                        ; implicit-def: $vgpr18
                                        ; implicit-def: $vgpr20
                                        ; implicit-def: $vgpr24
	v_add_co_u32 v29, s0, v6, v4
	v_add_co_ci_u32_e64 v30, s0, v7, v5, s0
	v_mov_b32_e32 v5, v1
	v_add_co_u32 v62, s0, 0x800, v29
	v_add_co_ci_u32_e64 v63, s0, 0, v30, s0
	v_add_co_u32 v64, s0, 0x1000, v29
	v_add_co_ci_u32_e64 v65, s0, 0, v30, s0
	v_add_co_u32 v31, s0, 0x1800, v29
	v_add_co_ci_u32_e64 v32, s0, 0, v30, s0
	v_add_co_u32 v42, s0, 0x2000, v29
	s_clause 0x3
	global_load_dwordx2 v[50:51], v[29:30], off
	global_load_dwordx2 v[60:61], v[29:30], off offset:840
	global_load_dwordx2 v[58:59], v[29:30], off offset:1680
	;; [unrolled: 1-line block ×3, first 2 shown]
	v_add_co_ci_u32_e64 v43, s0, 0, v30, s0
	s_clause 0x8
	global_load_dwordx2 v[44:45], v[62:63], off offset:1312
	global_load_dwordx2 v[38:39], v[64:65], off offset:104
	;; [unrolled: 1-line block ×9, first 2 shown]
                                        ; implicit-def: $vgpr6
	v_cmpx_gt_u32_e32 14, v0
	s_cbranch_execz .LBB0_12
; %bb.11:
	v_add_co_u32 v6, s0, 0x2800, v29
	v_add_co_ci_u32_e64 v7, s0, 0, v30, s0
	s_clause 0xc
	global_load_dwordx2 v[4:5], v[29:30], off offset:728
	global_load_dwordx2 v[24:25], v[29:30], off offset:1568
	;; [unrolled: 1-line block ×13, first 2 shown]
	s_waitcnt vmcnt(12)
	v_mov_b32_e32 v1, v4
.LBB0_12:
	s_or_b32 exec_lo, exec_lo, s4
.LBB0_13:
	s_or_b32 exec_lo, exec_lo, s1
	s_waitcnt vmcnt(0)
	v_sub_f32_e32 v75, v25, v7
	v_add_f32_e32 v73, v24, v6
	v_sub_f32_e32 v87, v21, v9
	v_add_f32_e32 v76, v20, v8
	v_sub_f32_e32 v92, v19, v11
	v_mul_f32_e32 v4, 0xbeedf032, v75
	v_mul_f32_e32 v67, 0xbf52af12, v75
	;; [unrolled: 1-line block ×4, first 2 shown]
	v_add_f32_e32 v77, v18, v10
	v_fma_f32 v30, 0x3f62ad3f, v73, -v4
	v_fma_f32 v32, 0x3f116cb1, v73, -v67
	v_sub_f32_e32 v94, v17, v27
	v_mul_f32_e32 v62, 0xbf7e222b, v92
	v_fma_f32 v31, 0x3f116cb1, v76, -v63
	v_add_f32_e32 v30, v1, v30
	v_fma_f32 v33, 0xbeb58ec6, v76, -v65
	v_add_f32_e32 v32, v1, v32
	v_mul_f32_e32 v68, 0xbe750f2a, v92
	v_mul_f32_e32 v95, 0xbf6f5d39, v75
	v_add_f32_e32 v82, v16, v26
	v_fma_f32 v42, 0x3df6dbef, v77, -v62
	v_add_f32_e32 v30, v30, v31
	v_mul_f32_e32 v64, 0xbf6f5d39, v94
	v_sub_f32_e32 v97, v15, v29
	v_add_f32_e32 v31, v32, v33
	v_fma_f32 v32, 0xbf788fa5, v77, -v68
	v_mul_f32_e32 v70, 0x3f29c268, v94
	v_fma_f32 v43, 0xbeb58ec6, v73, -v95
	v_mul_f32_e32 v96, 0x3f29c268, v87
	v_add_f32_e32 v30, v30, v42
	v_fma_f32 v33, 0xbeb58ec6, v82, -v64
	v_add_f32_e32 v89, v14, v28
	v_mul_f32_e32 v69, 0xbf29c268, v97
	v_add_f32_e32 v31, v31, v32
	v_fma_f32 v32, 0xbf3f9e67, v82, -v70
	v_mul_f32_e32 v71, 0x3f7e222b, v97
	v_sub_f32_e32 v98, v13, v23
	v_add_f32_e32 v43, v1, v43
	v_fma_f32 v84, 0xbf3f9e67, v76, -v96
	v_mul_f32_e32 v88, 0x3eedf032, v92
	v_add_f32_e32 v30, v30, v33
	v_fma_f32 v33, 0xbf3f9e67, v89, -v69
	v_add_f32_e32 v31, v31, v32
	v_fma_f32 v32, 0x3df6dbef, v89, -v71
	v_add_f32_e32 v79, v12, v22
	v_mul_f32_e32 v72, 0xbe750f2a, v98
	v_mul_f32_e32 v80, 0xbf7e222b, v75
	v_add_f32_e32 v43, v43, v84
	v_fma_f32 v85, 0x3f62ad3f, v77, -v88
	v_mul_f32_e32 v90, 0xbf7e222b, v94
	v_add_f32_e32 v30, v30, v33
	v_add_f32_e32 v31, v31, v32
	v_mul_f32_e32 v74, 0x3eedf032, v98
	v_fma_f32 v32, 0xbf788fa5, v79, -v72
	v_fma_f32 v33, 0x3df6dbef, v73, -v80
	v_mul_f32_e32 v81, 0xbe750f2a, v87
	v_add_f32_e32 v43, v43, v85
	v_fma_f32 v85, 0x3df6dbef, v82, -v90
	v_mul_f32_e32 v91, 0x3e750f2a, v97
	v_fma_f32 v42, 0x3f62ad3f, v79, -v74
	v_add_f32_e32 v33, v1, v33
	v_fma_f32 v78, 0xbf788fa5, v76, -v81
	v_mul_f32_e32 v83, 0x3f6f5d39, v92
	v_add_f32_e32 v30, v30, v32
	v_add_f32_e32 v32, v43, v85
	v_fma_f32 v43, 0xbf788fa5, v89, -v91
	v_mul_f32_e32 v99, 0xbf29c268, v75
	v_add_f32_e32 v33, v33, v78
	v_fma_f32 v78, 0xbeb58ec6, v77, -v83
	v_mul_f32_e32 v86, 0x3eedf032, v94
	v_add_f32_e32 v31, v31, v42
	v_add_f32_e32 v42, v32, v43
	v_mul_f32_e32 v105, 0xbf788fa5, v73
	v_fma_f32 v43, 0xbf3f9e67, v73, -v99
	v_mul_f32_e32 v100, 0x3f7e222b, v87
	v_add_f32_e32 v33, v33, v78
	v_fma_f32 v78, 0x3f62ad3f, v82, -v86
	v_mul_f32_e32 v84, 0xbf52af12, v97
	v_fmamk_f32 v101, v75, 0x3e750f2a, v105
	v_add_f32_e32 v43, v1, v43
	v_fma_f32 v103, 0x3df6dbef, v76, -v100
	v_mul_f32_e32 v102, 0xbf52af12, v92
	v_add_f32_e32 v33, v33, v78
	v_fma_f32 v78, 0x3f116cb1, v89, -v84
	v_mul_f32_e32 v85, 0xbf29c268, v98
	v_mul_f32_e32 v93, 0x3f52af12, v98
	;; [unrolled: 1-line block ×3, first 2 shown]
	v_add_f32_e32 v104, v1, v101
	v_add_f32_e32 v43, v43, v103
	v_fma_f32 v103, 0x3f116cb1, v77, -v102
	v_mul_f32_e32 v101, 0x3e750f2a, v94
	v_add_f32_e32 v33, v33, v78
	v_fma_f32 v32, 0xbf3f9e67, v79, -v85
	v_fma_f32 v78, 0x3f116cb1, v79, -v93
	v_fmamk_f32 v107, v87, 0xbeedf032, v106
	v_mul_f32_e32 v108, 0xbf3f9e67, v77
	v_add_f32_e32 v43, v43, v103
	v_fma_f32 v103, 0xbf788fa5, v82, -v101
	v_mul_f32_e32 v109, 0x3f116cb1, v82
	v_add_f32_e32 v104, v104, v107
	v_fmamk_f32 v107, v92, 0x3f29c268, v108
	v_add_f32_e32 v32, v33, v32
	v_add_f32_e32 v33, v42, v78
	;; [unrolled: 1-line block ×5, first 2 shown]
	v_fmamk_f32 v107, v94, 0xbf52af12, v109
	v_mul_f32_e32 v103, 0x3eedf032, v97
	v_mul_f32_e32 v110, 0xbeb58ec6, v89
	v_add_f32_e32 v43, v43, v58
	v_sub_f32_e32 v112, v61, v57
	v_add_f32_e32 v78, v104, v107
	v_add_f32_e32 v107, v56, v60
	v_fma_f32 v104, 0x3f62ad3f, v89, -v103
	v_add_f32_e32 v43, v43, v48
	v_fmamk_f32 v111, v97, 0x3f6f5d39, v110
	v_add_f32_e32 v114, v58, v54
	v_mul_f32_e32 v113, 0x3f62ad3f, v107
	v_add_f32_e32 v42, v42, v104
	v_add_f32_e32 v43, v43, v44
	;; [unrolled: 1-line block ×3, first 2 shown]
	v_sub_f32_e32 v115, v59, v55
	v_fmamk_f32 v111, v112, 0x3eedf032, v113
	v_mul_f32_e32 v116, 0x3f116cb1, v114
	v_mul_f32_e32 v104, 0xbf6f5d39, v98
	v_add_f32_e32 v117, v52, v48
	v_add_f32_e32 v43, v43, v38
	;; [unrolled: 1-line block ×3, first 2 shown]
	v_fmamk_f32 v118, v115, 0x3f52af12, v116
	v_sub_f32_e32 v119, v49, v53
	v_mul_f32_e32 v120, 0x3df6dbef, v117
	v_fma_f32 v121, 0xbeb58ec6, v79, -v104
	v_add_f32_e32 v122, v44, v46
	v_add_f32_e32 v43, v43, v34
	;; [unrolled: 1-line block ×3, first 2 shown]
	v_fmamk_f32 v118, v119, 0x3f7e222b, v120
	v_sub_f32_e32 v123, v45, v47
	v_mul_f32_e32 v124, 0xbeb58ec6, v122
	v_add_f32_e32 v43, v43, v36
	v_add_f32_e32 v42, v42, v121
	;; [unrolled: 1-line block ×4, first 2 shown]
	v_fmamk_f32 v118, v123, 0x3f6f5d39, v124
	v_add_f32_e32 v43, v43, v40
	v_sub_f32_e32 v125, v39, v41
	v_mul_f32_e32 v126, 0xbf3f9e67, v121
	v_add_f32_e32 v128, v34, v36
	v_mul_f32_e32 v127, 0x3df6dbef, v79
	v_add_f32_e32 v111, v118, v111
	v_add_f32_e32 v43, v43, v46
	v_fmamk_f32 v118, v125, 0x3f29c268, v126
	v_sub_f32_e32 v129, v35, v37
	v_mul_f32_e32 v130, 0xbf788fa5, v128
	v_mul_f32_e32 v132, 0x3f116cb1, v107
	v_and_b32_e32 v66, 1, v66
	v_add_f32_e32 v43, v43, v52
	v_fmamk_f32 v131, v98, 0xbf7e222b, v127
	v_add_f32_e32 v111, v118, v111
	v_fmamk_f32 v118, v129, 0x3e750f2a, v130
	v_fmamk_f32 v135, v112, 0x3f52af12, v132
	v_mul_f32_e32 v136, 0xbeb58ec6, v114
	v_mul_f32_e32 v137, 0x3df6dbef, v107
	v_add_f32_e32 v133, v43, v54
	v_cmp_eq_u32_e64 s0, 1, v66
	v_add_f32_e32 v43, v78, v131
	v_add_f32_e32 v111, v118, v111
	;; [unrolled: 1-line block ×3, first 2 shown]
	v_fmamk_f32 v118, v115, 0x3f6f5d39, v136
	v_fmamk_f32 v131, v112, 0x3f7e222b, v137
	v_mul_f32_e32 v135, 0xbf788fa5, v114
	v_mul_f32_e32 v138, 0xbf788fa5, v117
	v_cndmask_b32_e64 v66, 0, 0x555, s0
	v_mad_u32_u24 v134, v0, 52, 0
	v_add_f32_e32 v118, v118, v78
	v_add_f32_e32 v131, v131, v50
	v_fmamk_f32 v139, v115, 0x3e750f2a, v135
	v_fmamk_f32 v140, v119, 0x3e750f2a, v138
	v_mul_f32_e32 v141, 0xbeb58ec6, v117
	v_mul_f32_e32 v142, 0xbf3f9e67, v122
	v_add_f32_e32 v133, v56, v133
	v_lshl_add_u32 v78, v66, 2, v134
	v_add_f32_e32 v131, v139, v131
	v_add_f32_e32 v118, v118, v140
	v_fmamk_f32 v134, v119, 0xbf6f5d39, v141
	v_fmamk_f32 v139, v123, 0xbf29c268, v142
	v_mul_f32_e32 v140, 0x3f62ad3f, v122
	v_mul_f32_e32 v143, 0x3df6dbef, v121
	ds_write2_b32 v78, v133, v111 offset1:1
	v_add_f32_e32 v111, v131, v134
	v_add_f32_e32 v118, v139, v118
	v_fmamk_f32 v131, v123, 0xbeedf032, v140
	v_fmamk_f32 v133, v125, 0xbf7e222b, v143
	v_mul_f32_e32 v134, 0x3f116cb1, v121
	v_mul_f32_e32 v139, 0x3f62ad3f, v128
	;; [unrolled: 1-line block ×3, first 2 shown]
	v_add_f32_e32 v111, v131, v111
	v_add_f32_e32 v118, v133, v118
	v_fmamk_f32 v131, v125, 0x3f52af12, v134
	v_fmamk_f32 v133, v129, 0xbeedf032, v139
	;; [unrolled: 1-line block ×3, first 2 shown]
	v_mul_f32_e32 v146, 0xbf3f9e67, v114
	v_mul_f32_e32 v147, 0xbf3f9e67, v107
	v_add_f32_e32 v111, v131, v111
	v_add_f32_e32 v118, v133, v118
	;; [unrolled: 1-line block ×3, first 2 shown]
	v_fmamk_f32 v133, v115, 0xbf29c268, v146
	v_fmamk_f32 v145, v112, 0x3f29c268, v147
	v_mul_f32_e32 v148, 0x3df6dbef, v114
	v_mul_f32_e32 v149, 0x3f62ad3f, v117
	;; [unrolled: 1-line block ×3, first 2 shown]
	v_add_f32_e32 v131, v133, v131
	v_add_f32_e32 v133, v145, v50
	v_fmamk_f32 v145, v115, 0xbf7e222b, v148
	v_fmamk_f32 v151, v119, 0xbeedf032, v149
	v_mul_f32_e32 v152, 0x3f116cb1, v117
	v_mul_f32_e32 v154, 0x3df6dbef, v122
	v_fmamk_f32 v153, v129, 0x3f29c268, v150
	v_add_f32_e32 v133, v145, v133
	v_add_f32_e32 v131, v131, v151
	v_fmamk_f32 v145, v119, 0x3f52af12, v152
	v_mul_f32_e32 v151, 0xbf788fa5, v122
	v_fmamk_f32 v155, v123, 0x3f7e222b, v154
	v_add_f32_e32 v111, v153, v111
	v_mul_f32_e32 v107, 0xbf788fa5, v107
	v_add_f32_e32 v133, v133, v145
	v_fmamk_f32 v145, v123, 0xbe750f2a, v151
	v_add_f32_e32 v131, v155, v131
	v_mul_f32_e32 v155, 0x3f62ad3f, v121
	v_mul_f32_e32 v156, 0xbf788fa5, v121
	ds_write2_b32 v78, v118, v111 offset0:2 offset1:3
	v_add_f32_e32 v133, v145, v133
	v_fmamk_f32 v111, v112, 0x3e750f2a, v107
	v_fmamk_f32 v145, v125, 0xbeedf032, v155
	v_mul_f32_e32 v114, 0x3f62ad3f, v114
	v_fmamk_f32 v153, v125, 0xbe750f2a, v156
	v_mul_f32_e32 v157, 0x3f116cb1, v128
	v_fmac_f32_e32 v107, 0xbe750f2a, v112
	v_add_f32_e32 v118, v145, v133
	v_add_f32_e32 v111, v111, v50
	v_fmamk_f32 v133, v115, 0xbeedf032, v114
	v_mul_f32_e32 v117, 0xbf3f9e67, v117
	v_add_f32_e32 v131, v153, v131
	v_fmamk_f32 v153, v129, 0xbf52af12, v157
	v_mul_f32_e32 v145, 0xbeb58ec6, v128
	v_add_f32_e32 v107, v107, v50
	v_fmac_f32_e32 v114, 0x3eedf032, v115
	v_add_f32_e32 v111, v133, v111
	v_fmamk_f32 v133, v119, 0x3f29c268, v117
	v_mul_f32_e32 v122, 0x3f116cb1, v122
	v_add_f32_e32 v131, v153, v131
	v_fmamk_f32 v153, v129, 0x3f6f5d39, v145
	v_add_f32_e32 v107, v114, v107
	v_add_f32_e32 v111, v111, v133
	v_fmamk_f32 v114, v123, 0xbf52af12, v122
	v_mul_f32_e32 v121, 0xbeb58ec6, v121
	v_fmac_f32_e32 v117, 0xbf29c268, v119
	v_add_f32_e32 v118, v153, v118
	v_fmac_f32_e32 v147, 0xbf29c268, v112
	v_add_f32_e32 v111, v114, v111
	v_fmamk_f32 v114, v125, 0x3f6f5d39, v121
	v_add_f32_e32 v107, v107, v117
	v_fmac_f32_e32 v122, 0x3f52af12, v123
	ds_write2_b32 v78, v131, v118 offset0:4 offset1:5
	v_add_f32_e32 v118, v147, v50
	v_add_f32_e32 v111, v114, v111
	v_mul_f32_e32 v114, 0x3df6dbef, v128
	v_fmac_f32_e32 v148, 0x3f7e222b, v115
	v_fmac_f32_e32 v105, 0xbe750f2a, v75
	v_fmac_f32_e32 v144, 0xbf6f5d39, v112
	v_add_f32_e32 v107, v122, v107
	v_fmac_f32_e32 v121, 0xbf6f5d39, v125
	v_fmamk_f32 v122, v129, 0xbf7e222b, v114
	v_add_f32_e32 v118, v148, v118
	v_fmac_f32_e32 v152, 0xbf52af12, v119
	v_fmac_f32_e32 v132, 0xbf52af12, v112
	;; [unrolled: 1-line block ×5, first 2 shown]
	v_add_f32_e32 v75, v1, v105
	v_add_f32_e32 v117, v144, v50
	v_fmac_f32_e32 v146, 0x3f29c268, v115
	v_add_f32_e32 v107, v121, v107
	v_add_f32_e32 v111, v122, v111
	;; [unrolled: 1-line block ×3, first 2 shown]
	v_fmac_f32_e32 v151, 0x3e750f2a, v123
	v_add_f32_e32 v121, v132, v50
	v_fmac_f32_e32 v136, 0xbf6f5d39, v115
	v_add_f32_e32 v122, v137, v50
	v_fmac_f32_e32 v135, 0xbe750f2a, v115
	v_fmac_f32_e32 v116, 0xbf52af12, v115
	v_add_f32_e32 v50, v113, v50
	v_add_f32_e32 v75, v75, v106
	v_fmac_f32_e32 v108, 0xbf29c268, v92
	v_add_f32_e32 v117, v146, v117
	v_fmac_f32_e32 v149, 0x3eedf032, v119
	v_fmac_f32_e32 v114, 0x3f7e222b, v129
	v_add_f32_e32 v118, v151, v118
	v_fmac_f32_e32 v155, 0x3eedf032, v125
	v_add_f32_e32 v121, v136, v121
	v_add_f32_e32 v122, v135, v122
	v_fmac_f32_e32 v138, 0xbe750f2a, v119
	v_fmac_f32_e32 v141, 0x3f6f5d39, v119
	v_add_f32_e32 v50, v116, v50
	v_fmac_f32_e32 v120, 0xbf7e222b, v119
	v_add_f32_e32 v75, v75, v108
	;; [unrolled: 2-line block ×4, first 2 shown]
	v_add_f32_e32 v114, v155, v118
	v_add_f32_e32 v118, v121, v138
	;; [unrolled: 1-line block ×3, first 2 shown]
	v_fmac_f32_e32 v142, 0x3f29c268, v123
	v_fmac_f32_e32 v140, 0x3eedf032, v123
	v_add_f32_e32 v50, v50, v120
	v_fmac_f32_e32 v124, 0xbf6f5d39, v123
	v_add_f32_e32 v75, v75, v109
	v_fmac_f32_e32 v110, 0xbf6f5d39, v97
	v_add_f32_e32 v117, v154, v117
	v_fmac_f32_e32 v156, 0x3e750f2a, v125
	v_add_f32_e32 v87, v142, v118
	v_add_f32_e32 v105, v140, v121
	v_fmac_f32_e32 v143, 0x3f7e222b, v125
	v_fmac_f32_e32 v134, 0xbf52af12, v125
	v_add_f32_e32 v50, v124, v50
	v_fmac_f32_e32 v126, 0xbf29c268, v125
	v_add_f32_e32 v75, v75, v110
	;; [unrolled: 2-line block ×3, first 2 shown]
	v_fmac_f32_e32 v157, 0x3f52af12, v129
	v_fmac_f32_e32 v145, 0xbf6f5d39, v129
	v_add_f32_e32 v87, v143, v87
	v_add_f32_e32 v92, v134, v105
	v_fmac_f32_e32 v139, 0x3eedf032, v129
	v_fmac_f32_e32 v150, 0xbf29c268, v129
	v_add_f32_e32 v50, v126, v50
	v_fmac_f32_e32 v130, 0xbe750f2a, v129
	v_add_f32_e32 v75, v75, v127
	v_cmp_gt_u32_e64 s1, 14, v0
	v_add_f32_e32 v117, v157, v117
	v_add_f32_e32 v94, v145, v114
	;; [unrolled: 1-line block ×5, first 2 shown]
	ds_write2_b32 v78, v111, v107 offset0:6 offset1:7
	ds_write2_b32 v78, v94, v117 offset0:8 offset1:9
	;; [unrolled: 1-line block ×3, first 2 shown]
	ds_write_b32 v78, v50 offset:48
	s_and_saveexec_b32 s0, s1
	s_cbranch_execz .LBB0_15
; %bb.14:
	v_mul_f32_e32 v50, 0x3f62ad3f, v73
	v_mul_f32_e32 v87, 0x3f116cb1, v73
	;; [unrolled: 1-line block ×10, first 2 shown]
	v_add_f32_e32 v73, v99, v73
	v_mul_f32_e32 v107, 0x3df6dbef, v77
	v_mul_f32_e32 v108, 0xbf788fa5, v77
	;; [unrolled: 1-line block ×5, first 2 shown]
	v_add_f32_e32 v73, v1, v73
	v_add_f32_e32 v76, v100, v76
	v_mul_f32_e32 v111, 0xbeb58ec6, v82
	v_mul_f32_e32 v99, 0xbf3f9e67, v82
	;; [unrolled: 1-line block ×9, first 2 shown]
	v_add_f32_e32 v73, v73, v76
	v_add_f32_e32 v76, v102, v77
	v_mul_f32_e32 v77, 0x3f62ad3f, v89
	v_add_f32_e32 v89, v95, v94
	v_mul_f32_e32 v94, 0xbf788fa5, v79
	v_mul_f32_e32 v95, 0x3f62ad3f, v79
	v_add_f32_e32 v73, v73, v76
	v_add_f32_e32 v76, v101, v82
	;; [unrolled: 1-line block ×4, first 2 shown]
	v_mul_f32_e32 v96, 0xbf3f9e67, v79
	v_mul_f32_e32 v101, 0x3f116cb1, v79
	v_add_f32_e32 v73, v73, v76
	v_add_f32_e32 v76, v103, v77
	;; [unrolled: 1-line block ×4, first 2 shown]
	v_mul_f32_e32 v79, 0xbeb58ec6, v79
	v_add_f32_e32 v67, v67, v87
	v_add_f32_e32 v73, v73, v76
	;; [unrolled: 1-line block ×45, first 2 shown]
	v_add_nc_u32_e32 v67, 0x127c, v78
	v_add_f32_e32 v1, v1, v62
	v_add_f32_e32 v62, v72, v94
	v_add_f32_e32 v4, v8, v4
	v_add_f32_e32 v63, v63, v64
	v_add_f32_e32 v64, v74, v95
	v_add_f32_e32 v77, v77, v82
	v_add_f32_e32 v81, v93, v101
	v_add_f32_e32 v4, v6, v4
	v_add_f32_e32 v65, v85, v96
	v_add_f32_e32 v1, v1, v62
	v_add_nc_u32_e32 v62, 0x128c, v78
	v_add_f32_e32 v63, v63, v64
	ds_write2_b32 v67, v4, v30 offset1:1
	v_add_nc_u32_e32 v4, 0x1284, v78
	v_add_nc_u32_e32 v64, 0x1294, v78
	v_add_f32_e32 v68, v77, v81
	v_add_f32_e32 v50, v50, v65
	v_add_nc_u32_e32 v65, 0x129c, v78
	v_add_nc_u32_e32 v67, 0x12a4, v78
	ds_write2_b32 v4, v31, v32 offset1:1
	ds_write2_b32 v62, v33, v42 offset1:1
	;; [unrolled: 1-line block ×5, first 2 shown]
	ds_write_b32 v78, v1 offset:4780
.LBB0_15:
	s_or_b32 exec_lo, exec_lo, s0
	v_lshlrev_b32_e32 v74, 2, v66
	v_lshlrev_b32_e32 v4, 2, v0
	s_waitcnt lgkmcnt(0)
	s_barrier
	buffer_gl0_inv
	v_cmp_gt_u32_e64 s0, 13, v0
	v_add3_u32 v50, 0, v4, v74
	v_add3_u32 v1, 0, v74, v4
	v_add_nc_u32_e32 v64, 0x400, v50
	v_add_nc_u32_e32 v65, 0x600, v50
	;; [unrolled: 1-line block ×5, first 2 shown]
	ds_read2_b32 v[62:63], v50 offset0:91 offset1:195
	ds_read2_b32 v[72:73], v64 offset0:30 offset1:134
	;; [unrolled: 1-line block ×6, first 2 shown]
	ds_read_b32 v76, v1
	ds_read_b32 v77, v50 offset:5044
	s_and_saveexec_b32 s4, s0
	s_cbranch_execz .LBB0_17
; %bb.16:
	v_add_nc_u32_e32 v30, 0x200, v50
	v_add_nc_u32_e32 v32, 0x800, v50
	;; [unrolled: 1-line block ×3, first 2 shown]
	ds_read2_b32 v[30:31], v30 offset0:54 offset1:249
	ds_read2_b32 v[32:33], v32 offset0:60 offset1:255
	;; [unrolled: 1-line block ×3, first 2 shown]
	ds_read_b32 v75, v50 offset:5408
.LBB0_17:
	s_or_b32 exec_lo, exec_lo, s4
	v_add_f32_e32 v79, v51, v61
	v_sub_f32_e32 v54, v58, v54
	v_sub_f32_e32 v56, v60, v56
	v_add_f32_e32 v60, v57, v61
	v_add_f32_e32 v61, v59, v55
	v_add_f32_e32 v58, v79, v59
	v_mul_f32_e32 v83, 0xbf52af12, v54
	v_mul_f32_e32 v59, 0xbeedf032, v56
	;; [unrolled: 1-line block ×4, first 2 shown]
	v_add_f32_e32 v58, v58, v49
	v_mul_f32_e32 v81, 0xbf6f5d39, v56
	v_mul_f32_e32 v82, 0xbf29c268, v56
	;; [unrolled: 1-line block ×4, first 2 shown]
	v_add_f32_e32 v58, v58, v45
	v_fmamk_f32 v87, v60, 0x3f62ad3f, v59
	v_fma_f32 v59, 0x3f62ad3f, v60, -v59
	v_fmamk_f32 v88, v60, 0x3f116cb1, v79
	v_fma_f32 v79, 0x3f116cb1, v60, -v79
	v_add_f32_e32 v58, v58, v39
	v_mul_f32_e32 v85, 0xbe750f2a, v54
	v_mul_f32_e32 v86, 0x3f29c268, v54
	v_fmamk_f32 v89, v60, 0x3df6dbef, v80
	v_fma_f32 v80, 0x3df6dbef, v60, -v80
	v_add_f32_e32 v58, v58, v35
	v_fmamk_f32 v90, v60, 0xbeb58ec6, v81
	v_fma_f32 v81, 0xbeb58ec6, v60, -v81
	v_fmamk_f32 v91, v60, 0xbf3f9e67, v82
	v_fma_f32 v82, 0xbf3f9e67, v60, -v82
	v_add_f32_e32 v58, v58, v37
	v_fmamk_f32 v92, v60, 0xbf788fa5, v56
	v_fma_f32 v56, 0xbf788fa5, v60, -v56
	;; [unrolled: 5-line block ×3, first 2 shown]
	v_add_f32_e32 v87, v87, v51
	v_add_f32_e32 v59, v59, v51
	;; [unrolled: 1-line block ×18, first 2 shown]
	v_fmamk_f32 v57, v61, 0xbf788fa5, v85
	v_add_f32_e32 v60, v84, v79
	v_fma_f32 v79, 0xbf788fa5, v61, -v85
	v_fmamk_f32 v83, v61, 0xbf3f9e67, v86
	v_mul_f32_e32 v85, 0x3f7e222b, v54
	v_sub_f32_e32 v48, v48, v52
	v_fma_f32 v84, 0xbf3f9e67, v61, -v86
	v_add_f32_e32 v79, v79, v80
	v_add_f32_e32 v80, v83, v90
	v_mul_f32_e32 v54, 0x3eedf032, v54
	v_fma_f32 v83, 0x3df6dbef, v61, -v85
	v_add_f32_e32 v49, v53, v49
	v_mul_f32_e32 v53, 0xbf7e222b, v48
	v_add_f32_e32 v81, v84, v81
	v_fmamk_f32 v52, v61, 0x3df6dbef, v85
	v_fmamk_f32 v84, v61, 0x3f62ad3f, v54
	v_fma_f32 v54, 0x3f62ad3f, v61, -v54
	v_add_f32_e32 v61, v83, v82
	v_fmamk_f32 v82, v49, 0x3df6dbef, v53
	v_mul_f32_e32 v83, 0xbe750f2a, v48
	v_add_f32_e32 v55, v93, v88
	v_add_f32_e32 v51, v54, v51
	;; [unrolled: 1-line block ×4, first 2 shown]
	v_fmamk_f32 v56, v49, 0xbf788fa5, v83
	v_mul_f32_e32 v82, 0x3f6f5d39, v48
	v_fma_f32 v53, 0x3df6dbef, v49, -v53
	v_sub_f32_e32 v44, v44, v46
	v_add_f32_e32 v52, v52, v91
	v_add_f32_e32 v55, v55, v56
	v_fmamk_f32 v56, v49, 0xbeb58ec6, v82
	v_fma_f32 v83, 0xbf788fa5, v49, -v83
	v_add_f32_e32 v53, v59, v53
	v_mul_f32_e32 v59, 0x3eedf032, v48
	v_add_f32_e32 v45, v45, v47
	v_add_f32_e32 v56, v57, v56
	v_mul_f32_e32 v57, 0xbf52af12, v48
	v_mul_f32_e32 v48, 0xbf29c268, v48
	;; [unrolled: 1-line block ×3, first 2 shown]
	v_add_f32_e32 v60, v60, v83
	v_fma_f32 v82, 0xbeb58ec6, v49, -v82
	v_fmamk_f32 v46, v49, 0x3f116cb1, v57
	v_fma_f32 v57, 0x3f116cb1, v49, -v57
	v_fmamk_f32 v83, v49, 0x3f62ad3f, v59
	v_fma_f32 v59, 0x3f62ad3f, v49, -v59
	v_add_f32_e32 v58, v84, v58
	v_add_f32_e32 v46, v52, v46
	v_fmamk_f32 v52, v49, 0xbf3f9e67, v48
	v_fma_f32 v48, 0xbf3f9e67, v49, -v48
	v_add_f32_e32 v49, v61, v57
	v_fmamk_f32 v57, v45, 0xbeb58ec6, v47
	v_mul_f32_e32 v61, 0x3f29c268, v44
	v_fma_f32 v47, 0xbeb58ec6, v45, -v47
	v_add_f32_e32 v48, v51, v48
	v_sub_f32_e32 v38, v38, v40
	v_add_f32_e32 v51, v57, v54
	v_fmamk_f32 v54, v45, 0xbf3f9e67, v61
	v_mul_f32_e32 v57, 0x3eedf032, v44
	v_add_f32_e32 v52, v58, v52
	v_fma_f32 v58, 0xbf3f9e67, v45, -v61
	v_add_f32_e32 v47, v47, v53
	v_add_f32_e32 v54, v54, v55
	v_fmamk_f32 v55, v45, 0x3f62ad3f, v57
	v_mul_f32_e32 v53, 0xbf7e222b, v44
	v_add_f32_e32 v39, v39, v41
	v_mul_f32_e32 v41, 0xbf29c268, v38
	v_add_f32_e32 v58, v58, v60
	v_add_f32_e32 v55, v55, v56
	v_mul_f32_e32 v56, 0x3e750f2a, v44
	v_mul_f32_e32 v44, 0x3f52af12, v44
	v_fma_f32 v57, 0x3f62ad3f, v45, -v57
	v_fmamk_f32 v60, v45, 0x3df6dbef, v53
	v_fma_f32 v53, 0x3df6dbef, v45, -v53
	v_fmamk_f32 v40, v45, 0xbf788fa5, v56
	v_fma_f32 v56, 0xbf788fa5, v45, -v56
	v_add_f32_e32 v59, v81, v59
	v_sub_f32_e32 v34, v34, v36
	v_add_f32_e32 v35, v35, v37
	v_add_f32_e32 v40, v40, v46
	v_fmamk_f32 v46, v45, 0x3f116cb1, v44
	v_fma_f32 v44, 0x3f116cb1, v45, -v44
	v_add_f32_e32 v45, v56, v49
	v_fmamk_f32 v49, v39, 0xbf3f9e67, v41
	v_mul_f32_e32 v56, 0x3f7e222b, v38
	v_fma_f32 v41, 0xbf3f9e67, v39, -v41
	v_add_f32_e32 v44, v44, v48
	v_add_f32_e32 v53, v53, v59
	;; [unrolled: 1-line block ×3, first 2 shown]
	v_fmamk_f32 v49, v39, 0x3df6dbef, v56
	v_mul_f32_e32 v51, 0xbf52af12, v38
	v_add_f32_e32 v41, v41, v47
	v_mul_f32_e32 v47, 0x3e750f2a, v38
	v_add_f32_e32 v46, v46, v52
	v_add_f32_e32 v49, v49, v54
	v_fmamk_f32 v54, v39, 0x3f116cb1, v51
	v_fma_f32 v52, 0x3df6dbef, v39, -v56
	v_fmamk_f32 v56, v39, 0xbf788fa5, v47
	v_fma_f32 v47, 0xbf788fa5, v39, -v47
	v_mul_f32_e32 v37, 0xbe750f2a, v34
	v_add_f32_e32 v54, v54, v55
	v_mul_f32_e32 v55, 0x3eedf032, v38
	v_mul_f32_e32 v38, 0xbf6f5d39, v38
	v_add_f32_e32 v47, v47, v53
	v_fma_f32 v51, 0x3f116cb1, v39, -v51
	v_add_f32_e32 v80, v80, v83
	v_fmamk_f32 v36, v39, 0x3f62ad3f, v55
	v_fma_f32 v53, 0x3f62ad3f, v39, -v55
	v_add_f32_e32 v52, v52, v58
	v_add_f32_e32 v79, v79, v82
	v_add_f32_e32 v60, v60, v80
	v_add_f32_e32 v36, v36, v40
	v_fmamk_f32 v40, v39, 0xbeb58ec6, v38
	v_add_f32_e32 v45, v53, v45
	v_fma_f32 v38, 0xbeb58ec6, v39, -v38
	v_fmamk_f32 v39, v35, 0xbf788fa5, v37
	v_mul_f32_e32 v53, 0x3eedf032, v34
	v_fma_f32 v37, 0xbf788fa5, v35, -v37
	v_add_f32_e32 v56, v56, v60
	v_add_f32_e32 v38, v38, v44
	;; [unrolled: 1-line block ×3, first 2 shown]
	v_fmamk_f32 v39, v35, 0x3f62ad3f, v53
	v_mul_f32_e32 v44, 0xbf29c268, v34
	v_add_f32_e32 v88, v37, v41
	v_fma_f32 v37, 0x3f62ad3f, v35, -v53
	v_mul_f32_e32 v41, 0x3f52af12, v34
	v_add_f32_e32 v89, v39, v49
	v_fmamk_f32 v39, v35, 0xbf3f9e67, v44
	v_add_f32_e32 v40, v40, v46
	v_add_f32_e32 v90, v37, v52
	v_fmamk_f32 v37, v35, 0x3f116cb1, v41
	v_mul_f32_e32 v46, 0xbf6f5d39, v34
	v_add_f32_e32 v91, v39, v54
	v_fma_f32 v39, 0x3f116cb1, v35, -v41
	v_mul_f32_e32 v34, 0x3f7e222b, v34
	v_add_f32_e32 v93, v37, v56
	v_fmamk_f32 v37, v35, 0xbeb58ec6, v46
	v_add_f32_e32 v49, v25, v7
	v_add_f32_e32 v94, v39, v47
	v_sub_f32_e32 v39, v24, v6
	v_sub_f32_e32 v20, v20, v8
	v_add_f32_e32 v95, v37, v36
	v_fmamk_f32 v36, v35, 0x3df6dbef, v34
	v_fma_f32 v34, 0x3df6dbef, v35, -v34
	v_mul_f32_e32 v6, 0xbeedf032, v39
	v_add_f32_e32 v57, v57, v79
	v_fma_f32 v44, 0xbf3f9e67, v35, -v44
	v_fma_f32 v41, 0xbeb58ec6, v35, -v46
	v_add_f32_e32 v97, v36, v40
	v_mul_f32_e32 v40, 0xbf7e222b, v39
	v_fmamk_f32 v35, v49, 0x3f62ad3f, v6
	v_add_f32_e32 v98, v34, v38
	v_mul_f32_e32 v38, 0xbe750f2a, v39
	v_add_f32_e32 v54, v21, v9
	v_mul_f32_e32 v8, 0xbf52af12, v20
	v_add_f32_e32 v51, v51, v57
	v_fmamk_f32 v34, v49, 0x3df6dbef, v40
	v_add_f32_e32 v35, v5, v35
	v_fmamk_f32 v46, v49, 0xbf788fa5, v38
	v_fmamk_f32 v47, v54, 0x3f116cb1, v8
	v_mul_f32_e32 v48, 0xbe750f2a, v20
	v_add_f32_e32 v92, v44, v51
	v_add_f32_e32 v96, v41, v45
	v_mul_f32_e32 v24, 0xbf52af12, v39
	v_mul_f32_e32 v44, 0xbf29c268, v39
	v_add_f32_e32 v34, v5, v34
	v_mul_f32_e32 v45, 0xbf6f5d39, v20
	v_add_f32_e32 v51, v5, v46
	v_add_f32_e32 v35, v35, v47
	v_mul_f32_e32 v46, 0x3f29c268, v20
	v_fmamk_f32 v53, v54, 0xbf788fa5, v48
	v_mul_f32_e32 v47, 0x3f7e222b, v20
	v_mul_f32_e32 v20, 0x3eedf032, v20
	v_sub_f32_e32 v55, v18, v10
	v_fmamk_f32 v36, v49, 0x3f116cb1, v24
	v_mul_f32_e32 v41, 0xbf6f5d39, v39
	v_fmamk_f32 v39, v49, 0xbf3f9e67, v44
	v_fma_f32 v38, 0xbf788fa5, v49, -v38
	v_add_f32_e32 v34, v34, v53
	v_fmamk_f32 v53, v54, 0x3f62ad3f, v20
	v_add_f32_e32 v60, v19, v11
	v_mul_f32_e32 v18, 0xbf7e222b, v55
	v_add_f32_e32 v36, v5, v36
	v_fmamk_f32 v37, v49, 0xbeb58ec6, v41
	v_add_f32_e32 v39, v5, v39
	v_fmamk_f32 v52, v54, 0xbeb58ec6, v45
	;; [unrolled: 2-line block ×3, first 2 shown]
	v_add_f32_e32 v56, v51, v53
	v_fma_f32 v20, 0x3f62ad3f, v54, -v20
	v_fmamk_f32 v53, v60, 0x3df6dbef, v18
	v_mul_f32_e32 v51, 0x3f6f5d39, v55
	v_add_f32_e32 v37, v5, v37
	v_add_f32_e32 v36, v36, v52
	v_fmamk_f32 v52, v54, 0xbf3f9e67, v46
	v_add_f32_e32 v39, v39, v10
	v_mul_f32_e32 v10, 0xbe750f2a, v55
	v_add_f32_e32 v20, v38, v20
	v_add_f32_e32 v35, v35, v53
	v_fmamk_f32 v38, v60, 0xbeb58ec6, v51
	v_mul_f32_e32 v53, 0xbf52af12, v55
	v_add_f32_e32 v37, v37, v52
	v_mul_f32_e32 v52, 0x3eedf032, v55
	v_fmamk_f32 v57, v60, 0xbf788fa5, v10
	v_mul_f32_e32 v55, 0xbf29c268, v55
	v_add_f32_e32 v34, v34, v38
	v_sub_f32_e32 v38, v16, v26
	v_fmamk_f32 v16, v60, 0x3f116cb1, v53
	v_fmamk_f32 v58, v60, 0x3f62ad3f, v52
	v_add_f32_e32 v36, v36, v57
	v_fmamk_f32 v57, v60, 0xbf3f9e67, v55
	v_fma_f32 v55, 0xbf3f9e67, v60, -v55
	v_add_f32_e32 v83, v17, v27
	v_mul_f32_e32 v26, 0xbf6f5d39, v38
	v_add_f32_e32 v39, v39, v16
	v_mul_f32_e32 v16, 0x3f29c268, v38
	v_add_f32_e32 v37, v37, v58
	v_add_f32_e32 v59, v56, v57
	;; [unrolled: 1-line block ×3, first 2 shown]
	v_fmamk_f32 v58, v83, 0xbeb58ec6, v26
	v_mul_f32_e32 v55, 0x3eedf032, v38
	v_fmamk_f32 v61, v83, 0xbf3f9e67, v16
	v_mul_f32_e32 v56, 0xbf7e222b, v38
	v_mul_f32_e32 v57, 0x3e750f2a, v38
	v_add_f32_e32 v35, v35, v58
	v_fmamk_f32 v58, v83, 0x3f62ad3f, v55
	v_add_f32_e32 v36, v36, v61
	v_fmamk_f32 v61, v83, 0x3df6dbef, v56
	v_mul_f32_e32 v38, 0x3f52af12, v38
	v_sub_f32_e32 v80, v14, v28
	v_fmamk_f32 v79, v83, 0xbf788fa5, v57
	v_add_f32_e32 v34, v34, v58
	v_add_f32_e32 v37, v37, v61
	v_fmamk_f32 v61, v83, 0x3f116cb1, v38
	v_add_f32_e32 v84, v15, v29
	v_mul_f32_e32 v58, 0xbf29c268, v80
	v_mul_f32_e32 v28, 0xbf52af12, v80
	v_add_f32_e32 v39, v39, v79
	v_mul_f32_e32 v14, 0x3f7e222b, v80
	v_fma_f32 v38, 0x3f116cb1, v83, -v38
	v_add_f32_e32 v61, v59, v61
	v_fmamk_f32 v79, v84, 0xbf3f9e67, v58
	v_fmamk_f32 v82, v84, 0x3f116cb1, v28
	v_mul_f32_e32 v59, 0x3e750f2a, v80
	v_sub_f32_e32 v22, v12, v22
	v_fmamk_f32 v81, v84, 0x3df6dbef, v14
	v_add_f32_e32 v20, v20, v38
	v_add_f32_e32 v35, v35, v79
	;; [unrolled: 1-line block ×3, first 2 shown]
	v_fmamk_f32 v12, v84, 0xbf788fa5, v59
	v_mul_f32_e32 v79, 0x3eedf032, v80
	v_mul_f32_e32 v34, 0xbf6f5d39, v80
	v_add_f32_e32 v85, v13, v23
	v_mul_f32_e32 v80, 0xbe750f2a, v22
	v_add_f32_e32 v36, v36, v81
	v_add_f32_e32 v37, v37, v12
	v_fmamk_f32 v81, v84, 0x3f62ad3f, v79
	v_fmamk_f32 v82, v84, 0xbeb58ec6, v34
	v_fma_f32 v34, 0xbeb58ec6, v84, -v34
	v_fmamk_f32 v99, v85, 0xbf788fa5, v80
	v_mul_f32_e32 v12, 0x3eedf032, v22
	v_add_f32_e32 v100, v39, v81
	v_add_f32_e32 v101, v61, v82
	;; [unrolled: 1-line block ×4, first 2 shown]
	v_fmamk_f32 v35, v85, 0x3f62ad3f, v12
	v_mul_f32_e32 v61, 0xbf29c268, v22
	v_mul_f32_e32 v81, 0x3f52af12, v22
	;; [unrolled: 1-line block ×4, first 2 shown]
	v_add_f32_e32 v35, v36, v35
	v_fmamk_f32 v36, v85, 0xbf3f9e67, v61
	v_fmamk_f32 v39, v85, 0x3f116cb1, v81
	;; [unrolled: 1-line block ×4, first 2 shown]
	v_fma_f32 v22, 0x3df6dbef, v85, -v22
	v_add_f32_e32 v38, v38, v36
	v_add_f32_e32 v39, v37, v39
	;; [unrolled: 1-line block ×5, first 2 shown]
	v_add_nc_u32_e32 v22, 0x5b, v0
	s_waitcnt lgkmcnt(0)
	s_barrier
	buffer_gl0_inv
	ds_write2_b32 v78, v87, v86 offset1:1
	ds_write2_b32 v78, v89, v91 offset0:2 offset1:3
	ds_write2_b32 v78, v93, v95 offset0:4 offset1:5
	;; [unrolled: 1-line block ×5, first 2 shown]
	ds_write_b32 v78, v88 offset:48
	s_and_saveexec_b32 s4, s1
	s_cbranch_execz .LBB0_19
; %bb.18:
	v_add_f32_e32 v25, v5, v25
	v_mul_f32_e32 v78, 0x3f62ad3f, v49
	v_mul_f32_e32 v86, 0x3f116cb1, v49
	;; [unrolled: 1-line block ×4, first 2 shown]
	v_add_f32_e32 v21, v25, v21
	v_mul_f32_e32 v25, 0xbf3f9e67, v49
	v_mul_f32_e32 v49, 0x3f116cb1, v54
	v_sub_f32_e32 v6, v78, v6
	v_mul_f32_e32 v89, 0xbeb58ec6, v54
	v_add_f32_e32 v19, v21, v19
	v_mul_f32_e32 v90, 0xbf788fa5, v54
	v_mul_f32_e32 v21, 0xbf3f9e67, v54
	;; [unrolled: 1-line block ×3, first 2 shown]
	v_sub_f32_e32 v24, v86, v24
	v_add_f32_e32 v17, v19, v17
	v_sub_f32_e32 v25, v25, v44
	v_mul_f32_e32 v91, 0x3df6dbef, v60
	v_sub_f32_e32 v8, v49, v8
	v_add_f32_e32 v6, v5, v6
	v_add_f32_e32 v15, v17, v15
	v_mul_f32_e32 v92, 0xbf788fa5, v60
	v_mul_f32_e32 v19, 0xbeb58ec6, v60
	v_add_f32_e32 v24, v5, v24
	v_mul_f32_e32 v93, 0x3f62ad3f, v60
	v_add_f32_e32 v13, v15, v13
	v_mul_f32_e32 v60, 0x3f116cb1, v60
	v_mul_f32_e32 v94, 0xbeb58ec6, v83
	v_add_f32_e32 v6, v6, v8
	v_sub_f32_e32 v8, v21, v46
	v_add_f32_e32 v13, v13, v23
	v_sub_f32_e32 v18, v91, v18
	v_mul_f32_e32 v17, 0xbf3f9e67, v83
	v_mul_f32_e32 v95, 0x3f62ad3f, v83
	;; [unrolled: 1-line block ×3, first 2 shown]
	v_add_f32_e32 v13, v29, v13
	v_mul_f32_e32 v83, 0xbf788fa5, v83
	v_mul_f32_e32 v15, 0xbf3f9e67, v84
	v_add_f32_e32 v6, v6, v18
	v_sub_f32_e32 v18, v93, v52
	v_add_f32_e32 v13, v27, v13
	v_sub_f32_e32 v27, v87, v40
	v_sub_f32_e32 v40, v88, v41
	;; [unrolled: 1-line block ×4, first 2 shown]
	v_add_f32_e32 v11, v11, v13
	v_sub_f32_e32 v13, v89, v45
	v_mul_f32_e32 v97, 0x3df6dbef, v84
	v_mul_f32_e32 v99, 0xbf788fa5, v84
	;; [unrolled: 1-line block ×3, first 2 shown]
	v_add_f32_e32 v9, v9, v11
	v_add_f32_e32 v11, v5, v27
	;; [unrolled: 1-line block ×6, first 2 shown]
	v_sub_f32_e32 v9, v54, v47
	v_add_f32_e32 v11, v11, v41
	v_add_f32_e32 v8, v27, v8
	;; [unrolled: 1-line block ×3, first 2 shown]
	v_sub_f32_e32 v15, v15, v58
	v_add_f32_e32 v5, v5, v9
	v_sub_f32_e32 v9, v92, v10
	v_sub_f32_e32 v10, v19, v51
	;; [unrolled: 1-line block ×3, first 2 shown]
	v_add_f32_e32 v8, v8, v18
	v_mul_f32_e32 v98, 0x3f116cb1, v84
	v_add_f32_e32 v9, v13, v9
	v_add_f32_e32 v10, v11, v10
	v_sub_f32_e32 v11, v17, v16
	v_add_f32_e32 v5, v5, v19
	v_sub_f32_e32 v16, v96, v56
	v_sub_f32_e32 v17, v83, v57
	;; [unrolled: 1-line block ×3, first 2 shown]
	v_add_f32_e32 v9, v9, v11
	v_sub_f32_e32 v11, v97, v14
	v_mul_f32_e32 v84, 0xbf788fa5, v85
	v_mul_f32_e32 v100, 0x3f62ad3f, v85
	;; [unrolled: 1-line block ×5, first 2 shown]
	v_add_f32_e32 v8, v8, v16
	v_add_f32_e32 v5, v5, v17
	;; [unrolled: 1-line block ×3, first 2 shown]
	v_sub_f32_e32 v14, v99, v59
	v_sub_f32_e32 v15, v23, v79
	v_add_f32_e32 v10, v10, v13
	v_sub_f32_e32 v13, v98, v28
	v_add_f32_e32 v9, v9, v11
	v_mul_u32_u24_e32 v11, 52, v22
	v_add_f32_e32 v8, v8, v14
	v_add_f32_e32 v5, v5, v15
	v_sub_f32_e32 v14, v29, v81
	v_sub_f32_e32 v15, v85, v82
	;; [unrolled: 1-line block ×3, first 2 shown]
	v_add_f32_e32 v10, v10, v13
	v_sub_f32_e32 v12, v100, v12
	v_sub_f32_e32 v13, v101, v61
	v_add3_u32 v11, 0, v11, v74
	v_add_f32_e32 v8, v8, v14
	v_add_f32_e32 v5, v5, v15
	;; [unrolled: 1-line block ×5, first 2 shown]
	ds_write2_b32 v11, v7, v34 offset1:1
	ds_write2_b32 v11, v35, v38 offset0:2 offset1:3
	ds_write2_b32 v11, v39, v36 offset0:4 offset1:5
	ds_write2_b32 v11, v37, v20 offset0:6 offset1:7
	ds_write2_b32 v11, v5, v8 offset0:8 offset1:9
	ds_write2_b32 v11, v10, v9 offset0:10 offset1:11
	ds_write_b32 v11, v6 offset:48
.LBB0_19:
	s_or_b32 exec_lo, exec_lo, s4
	v_add_nc_u32_e32 v7, 0x400, v50
	v_add_nc_u32_e32 v8, 0x600, v50
	;; [unrolled: 1-line block ×5, first 2 shown]
	s_waitcnt lgkmcnt(0)
	s_barrier
	buffer_gl0_inv
	ds_read2_b32 v[5:6], v50 offset0:91 offset1:195
	ds_read2_b32 v[15:16], v7 offset0:30 offset1:134
	;; [unrolled: 1-line block ×6, first 2 shown]
	ds_read_b32 v18, v1
	ds_read_b32 v19, v50 offset:5044
	s_and_saveexec_b32 s1, s0
	s_cbranch_execz .LBB0_21
; %bb.20:
	v_add_nc_u32_e32 v17, 0x200, v50
	v_add_nc_u32_e32 v20, 0x800, v50
	;; [unrolled: 1-line block ×3, first 2 shown]
	ds_read2_b32 v[34:35], v17 offset0:54 offset1:249
	ds_read2_b32 v[38:39], v20 offset0:60 offset1:255
	;; [unrolled: 1-line block ×3, first 2 shown]
	ds_read_b32 v20, v50 offset:5408
.LBB0_21:
	s_or_b32 exec_lo, exec_lo, s1
	v_and_b32_e32 v17, 0xff, v0
	v_mov_b32_e32 v24, 6
	v_mov_b32_e32 v56, 2
	v_mul_lo_u16 v17, 0x4f, v17
	v_lshrrev_b16 v21, 10, v17
	v_and_b32_e32 v17, 0xff, v22
	v_mul_lo_u16 v23, v21, 13
	v_mul_lo_u16 v17, 0x4f, v17
	v_and_b32_e32 v21, 0xffff, v21
	v_sub_nc_u16 v25, v0, v23
	v_lshrrev_b16 v26, 10, v17
	v_add_nc_u32_e32 v23, 0xb6, v0
	v_mov_b32_e32 v17, 0x4ec5
	v_mad_u32_u24 v21, 0x16c, v21, 0
	v_mul_u32_u24_sdwa v27, v25, v24 dst_sel:DWORD dst_unused:UNUSED_PAD src0_sel:BYTE_0 src1_sel:DWORD
	v_mul_lo_u16 v28, v26, 13
	v_lshlrev_b32_sdwa v25, v56, v25 dst_sel:DWORD dst_unused:UNUSED_PAD src0_sel:DWORD src1_sel:BYTE_0
	v_mul_u32_u24_sdwa v17, v23, v17 dst_sel:DWORD dst_unused:UNUSED_PAD src0_sel:WORD_0 src1_sel:DWORD
	v_lshlrev_b32_e32 v27, 3, v27
	v_sub_nc_u16 v28, v22, v28
	v_add3_u32 v41, v21, v25, v74
	v_lshrrev_b32_e32 v17, 18, v17
	s_clause 0x1
	global_load_dwordx4 v[57:60], v27, s[8:9]
	global_load_dwordx4 v[78:81], v27, s[8:9] offset:16
	v_mul_u32_u24_sdwa v29, v28, v24 dst_sel:DWORD dst_unused:UNUSED_PAD src0_sel:BYTE_0 src1_sel:DWORD
	v_mul_lo_u16 v17, v17, 13
	global_load_dwordx4 v[82:85], v27, s[8:9] offset:32
	v_lshlrev_b32_e32 v29, 3, v29
	v_sub_nc_u16 v17, v23, v17
	global_load_dwordx4 v[86:89], v29, s[8:9]
	v_mul_u32_u24_sdwa v24, v17, v24 dst_sel:DWORD dst_unused:UNUSED_PAD src0_sel:WORD_0 src1_sel:DWORD
	global_load_dwordx4 v[90:93], v29, s[8:9] offset:16
	v_lshlrev_b32_e32 v24, 3, v24
	s_clause 0x3
	global_load_dwordx4 v[94:97], v29, s[8:9] offset:32
	global_load_dwordx4 v[98:101], v24, s[8:9]
	global_load_dwordx4 v[102:105], v24, s[8:9] offset:16
	global_load_dwordx4 v[106:109], v24, s[8:9] offset:32
	v_and_b32_e32 v24, 0xffff, v26
	v_lshlrev_b32_sdwa v26, v56, v28 dst_sel:DWORD dst_unused:UNUSED_PAD src0_sel:DWORD src1_sel:BYTE_0
	s_waitcnt vmcnt(0) lgkmcnt(0)
	s_barrier
	buffer_gl0_inv
	v_mad_u32_u24 v24, 0x16c, v24, 0
	v_add3_u32 v40, v24, v26, v74
	v_mul_f32_e32 v61, v6, v58
	v_mul_f32_e32 v51, v63, v58
	;; [unrolled: 1-line block ×24, first 2 shown]
	v_fma_f32 v58, v63, v57, -v61
	v_fmac_f32_e32 v51, v6, v57
	v_fma_f32 v57, v73, v59, -v110
	v_fmac_f32_e32 v52, v16, v59
	;; [unrolled: 2-line block ×3, first 2 shown]
	v_fma_f32 v12, v67, v82, -v81
	v_fma_f32 v60, v65, v84, -v83
	v_mul_f32_e32 v97, v35, v99
	v_mul_f32_e32 v45, v31, v99
	;; [unrolled: 1-line block ×11, first 2 shown]
	v_fmac_f32_e32 v29, v14, v78
	v_fma_f32 v14, v69, v80, -v79
	v_fmac_f32_e32 v54, v10, v82
	v_fmac_f32_e32 v55, v8, v84
	v_fma_f32 v8, v72, v86, -v85
	v_fma_f32 v6, v70, v88, -v87
	v_fmac_f32_e32 v26, v9, v92
	v_fma_f32 v9, v64, v94, -v93
	v_fmac_f32_e32 v27, v7, v94
	;; [unrolled: 2-line block ×3, first 2 shown]
	v_fmac_f32_e32 v28, v19, v96
	v_add_f32_e32 v13, v58, v60
	v_add_f32_e32 v19, v57, v12
	v_fmac_f32_e32 v24, v15, v86
	v_fmac_f32_e32 v21, v11, v90
	v_mul_f32_e32 v107, v20, v109
	v_fma_f32 v10, v68, v90, -v89
	v_fma_f32 v11, v66, v92, -v91
	v_fmac_f32_e32 v45, v35, v98
	v_fmac_f32_e32 v46, v38, v100
	;; [unrolled: 1-line block ×3, first 2 shown]
	v_fma_f32 v35, v43, v106, -v105
	v_fmac_f32_e32 v48, v37, v106
	v_fmac_f32_e32 v49, v20, v108
	v_sub_f32_e32 v15, v51, v55
	v_sub_f32_e32 v20, v52, v54
	v_add_f32_e32 v37, v59, v14
	v_sub_f32_e32 v38, v53, v29
	v_add_f32_e32 v39, v8, v7
	v_add_f32_e32 v43, v6, v9
	;; [unrolled: 1-line block ×3, first 2 shown]
	v_fma_f32 v16, v32, v100, -v99
	v_fma_f32 v32, v33, v102, -v101
	;; [unrolled: 1-line block ×3, first 2 shown]
	v_sub_f32_e32 v42, v24, v28
	v_sub_f32_e32 v61, v25, v27
	;; [unrolled: 1-line block ×3, first 2 shown]
	v_add_f32_e32 v63, v10, v11
	v_sub_f32_e32 v66, v19, v13
	v_sub_f32_e32 v13, v13, v37
	;; [unrolled: 1-line block ×3, first 2 shown]
	v_add_f32_e32 v67, v38, v20
	v_sub_f32_e32 v68, v38, v20
	v_sub_f32_e32 v20, v20, v15
	v_add_f32_e32 v69, v43, v39
	v_add_f32_e32 v37, v37, v65
	;; [unrolled: 1-line block ×3, first 2 shown]
	v_sub_f32_e32 v72, v64, v61
	v_sub_f32_e32 v61, v61, v42
	;; [unrolled: 1-line block ×6, first 2 shown]
	v_add_f32_e32 v15, v67, v15
	v_mul_f32_e32 v13, 0x3f4a47b2, v13
	v_mul_f32_e32 v65, 0x3d64c772, v19
	;; [unrolled: 1-line block ×4, first 2 shown]
	v_add_f32_e32 v63, v63, v69
	v_add_f32_e32 v73, v76, v37
	v_sub_f32_e32 v64, v42, v64
	v_add_f32_e32 v42, v71, v42
	v_mul_f32_e32 v71, 0xbf08b237, v72
	v_mul_f32_e32 v72, 0x3f5ff5aa, v61
	;; [unrolled: 1-line block ×3, first 2 shown]
	v_fmamk_f32 v19, v19, 0x3d64c772, v13
	v_fma_f32 v65, 0x3f3bfb3b, v66, -v65
	v_fma_f32 v13, 0xbf3bfb3b, v66, -v13
	v_fmamk_f32 v66, v38, 0x3eae86e6, v67
	v_fma_f32 v20, 0x3f5ff5aa, v20, -v67
	v_fma_f32 v38, 0xbeae86e6, v38, -v68
	v_add_f32_e32 v62, v62, v63
	v_mul_f32_e32 v69, 0x3d64c772, v43
	v_fmamk_f32 v37, v37, 0xbf955555, v73
	v_fmamk_f32 v68, v64, 0x3eae86e6, v71
	v_fma_f32 v61, 0x3f5ff5aa, v61, -v71
	v_fma_f32 v64, 0xbeae86e6, v64, -v72
	v_fmamk_f32 v43, v43, 0x3d64c772, v39
	v_fmac_f32_e32 v66, 0x3ee1c552, v15
	v_fmac_f32_e32 v20, 0x3ee1c552, v15
	;; [unrolled: 1-line block ×3, first 2 shown]
	v_fmamk_f32 v15, v63, 0xbf955555, v62
	v_fma_f32 v67, 0x3f3bfb3b, v70, -v69
	v_fma_f32 v39, 0xbf3bfb3b, v70, -v39
	v_add_f32_e32 v19, v19, v37
	v_fmac_f32_e32 v68, 0x3ee1c552, v42
	v_fmac_f32_e32 v61, 0x3ee1c552, v42
	;; [unrolled: 1-line block ×3, first 2 shown]
	v_add_f32_e32 v42, v65, v37
	v_add_f32_e32 v13, v13, v37
	;; [unrolled: 1-line block ×3, first 2 shown]
	v_fma_f32 v31, v31, v98, -v97
	v_fmac_f32_e32 v47, v36, v104
	v_fma_f32 v36, v75, v108, -v107
	v_add_f32_e32 v43, v67, v15
	v_add_f32_e32 v15, v39, v15
	;; [unrolled: 1-line block ×4, first 2 shown]
	v_sub_f32_e32 v65, v42, v20
	v_add_f32_e32 v20, v20, v42
	v_sub_f32_e32 v13, v13, v38
	v_sub_f32_e32 v19, v19, v66
	v_add_f32_e32 v38, v68, v37
	v_add_f32_e32 v42, v64, v15
	v_sub_f32_e32 v66, v43, v61
	v_add_f32_e32 v43, v61, v43
	v_sub_f32_e32 v15, v15, v64
	v_sub_f32_e32 v37, v37, v68
	ds_write2_b32 v41, v73, v39 offset1:13
	ds_write2_b32 v41, v63, v65 offset0:26 offset1:39
	ds_write2_b32 v41, v20, v13 offset0:52 offset1:65
	ds_write_b32 v41, v19 offset:312
	ds_write2_b32 v40, v62, v38 offset1:13
	ds_write2_b32 v40, v42, v66 offset0:26 offset1:39
	ds_write2_b32 v40, v43, v15 offset0:52 offset1:65
	ds_write_b32 v40, v37 offset:312
	s_and_saveexec_b32 s1, s0
	s_cbranch_execz .LBB0_23
; %bb.22:
	v_add_f32_e32 v13, v31, v36
	v_add_f32_e32 v19, v16, v35
	;; [unrolled: 1-line block ×3, first 2 shown]
	v_sub_f32_e32 v20, v47, v44
	v_sub_f32_e32 v39, v46, v48
	;; [unrolled: 1-line block ×3, first 2 shown]
	v_add_f32_e32 v38, v19, v13
	v_sub_f32_e32 v37, v13, v15
	v_sub_f32_e32 v43, v15, v19
	;; [unrolled: 1-line block ×4, first 2 shown]
	v_add_f32_e32 v15, v15, v38
	v_sub_f32_e32 v38, v20, v39
	v_mul_f32_e32 v37, 0x3f4a47b2, v37
	v_mul_f32_e32 v62, 0x3d64c772, v43
	v_sub_f32_e32 v63, v42, v20
	v_add_f32_e32 v30, v30, v15
	v_add_f32_e32 v20, v20, v39
	v_mul_f32_e32 v19, 0x3f5ff5aa, v61
	v_mul_f32_e32 v38, 0xbf08b237, v38
	v_fmamk_f32 v43, v43, 0x3d64c772, v37
	v_fmamk_f32 v15, v15, 0xbf955555, v30
	v_add_f32_e32 v20, v20, v42
	v_fma_f32 v37, 0xbf3bfb3b, v13, -v37
	v_fma_f32 v19, 0xbeae86e6, v63, -v19
	v_fmamk_f32 v39, v63, 0x3eae86e6, v38
	v_fma_f32 v38, 0x3f5ff5aa, v61, -v38
	v_fma_f32 v13, 0x3f3bfb3b, v13, -v62
	v_lshlrev_b32_sdwa v42, v56, v17 dst_sel:DWORD dst_unused:UNUSED_PAD src0_sel:DWORD src1_sel:WORD_0
	v_add_f32_e32 v37, v37, v15
	v_fmac_f32_e32 v19, 0x3ee1c552, v20
	v_fmac_f32_e32 v38, 0x3ee1c552, v20
	v_add_f32_e32 v13, v13, v15
	v_add_f32_e32 v15, v43, v15
	v_fmac_f32_e32 v39, 0x3ee1c552, v20
	v_add3_u32 v20, 0, v42, v74
	v_sub_f32_e32 v42, v37, v19
	v_add_f32_e32 v19, v19, v37
	v_sub_f32_e32 v43, v13, v38
	v_add_f32_e32 v37, v39, v15
	v_add_nc_u32_e32 v56, 0x1200, v20
	v_add_nc_u32_e32 v61, 0x1400, v20
	v_add_f32_e32 v13, v38, v13
	v_sub_f32_e32 v15, v15, v39
	ds_write2_b32 v56, v30, v37 offset0:122 offset1:135
	ds_write2_b32 v61, v19, v43 offset0:20 offset1:33
	;; [unrolled: 1-line block ×3, first 2 shown]
	ds_write_b32 v20, v15 offset:5408
.LBB0_23:
	s_or_b32 exec_lo, exec_lo, s1
	v_add_f32_e32 v13, v51, v55
	v_add_f32_e32 v15, v52, v54
	;; [unrolled: 1-line block ×3, first 2 shown]
	v_sub_f32_e32 v12, v57, v12
	v_sub_f32_e32 v14, v14, v59
	;; [unrolled: 1-line block ×3, first 2 shown]
	v_add_f32_e32 v29, v15, v13
	v_sub_f32_e32 v30, v15, v13
	v_sub_f32_e32 v13, v13, v20
	;; [unrolled: 1-line block ×3, first 2 shown]
	v_add_f32_e32 v37, v14, v12
	v_add_f32_e32 v20, v20, v29
	v_sub_f32_e32 v29, v14, v12
	v_sub_f32_e32 v14, v19, v14
	;; [unrolled: 1-line block ×3, first 2 shown]
	v_add_f32_e32 v19, v37, v19
	v_add_f32_e32 v37, v18, v20
	v_mul_f32_e32 v18, 0x3d64c772, v15
	v_mul_f32_e32 v29, 0xbf08b237, v29
	;; [unrolled: 1-line block ×4, first 2 shown]
	v_fmamk_f32 v20, v20, 0xbf955555, v37
	v_fma_f32 v18, 0x3f3bfb3b, v30, -v18
	v_fma_f32 v12, 0x3f5ff5aa, v12, -v29
	v_fmamk_f32 v15, v15, 0x3d64c772, v13
	v_fma_f32 v13, 0xbf3bfb3b, v30, -v13
	v_fmamk_f32 v39, v14, 0x3eae86e6, v29
	v_fma_f32 v38, 0xbeae86e6, v14, -v38
	v_add_f32_e32 v14, v18, v20
	v_fmac_f32_e32 v12, 0x3ee1c552, v19
	v_add_f32_e32 v43, v13, v20
	v_add_f32_e32 v13, v25, v27
	v_sub_f32_e32 v7, v8, v7
	v_add_f32_e32 v8, v21, v26
	v_add_f32_e32 v53, v12, v14
	v_sub_f32_e32 v54, v14, v12
	v_add_f32_e32 v12, v24, v28
	v_sub_f32_e32 v6, v6, v9
	v_sub_f32_e32 v9, v11, v10
	v_add_f32_e32 v42, v15, v20
	v_add_nc_u32_e32 v26, 0x600, v50
	v_add_f32_e32 v10, v13, v12
	v_sub_f32_e32 v11, v13, v12
	v_sub_f32_e32 v12, v12, v8
	;; [unrolled: 1-line block ×3, first 2 shown]
	v_add_f32_e32 v14, v9, v6
	v_add_f32_e32 v8, v8, v10
	v_sub_f32_e32 v10, v9, v6
	v_sub_f32_e32 v6, v6, v7
	;; [unrolled: 1-line block ×3, first 2 shown]
	v_add_f32_e32 v7, v14, v7
	v_add_f32_e32 v5, v5, v8
	v_mul_f32_e32 v12, 0x3f4a47b2, v12
	v_mul_f32_e32 v14, 0x3d64c772, v13
	;; [unrolled: 1-line block ×4, first 2 shown]
	v_fmamk_f32 v8, v8, 0xbf955555, v5
	v_fmamk_f32 v13, v13, 0x3d64c772, v12
	v_fma_f32 v14, 0x3f3bfb3b, v11, -v14
	v_fma_f32 v11, 0xbf3bfb3b, v11, -v12
	v_fmamk_f32 v55, v9, 0x3eae86e6, v10
	v_fma_f32 v56, 0x3f5ff5aa, v6, -v10
	v_fma_f32 v57, 0xbeae86e6, v9, -v15
	v_add_nc_u32_e32 v27, 0xc00, v50
	v_add_nc_u32_e32 v24, 0x400, v50
	;; [unrolled: 1-line block ×5, first 2 shown]
	v_fmac_f32_e32 v39, 0x3ee1c552, v19
	v_fmac_f32_e32 v38, 0x3ee1c552, v19
	v_add_f32_e32 v58, v13, v8
	v_add_f32_e32 v59, v14, v8
	;; [unrolled: 1-line block ×3, first 2 shown]
	v_fmac_f32_e32 v55, 0x3ee1c552, v7
	v_fmac_f32_e32 v56, 0x3ee1c552, v7
	;; [unrolled: 1-line block ×3, first 2 shown]
	s_waitcnt lgkmcnt(0)
	s_barrier
	buffer_gl0_inv
	ds_read_b32 v30, v1
	ds_read2_b32 v[18:19], v24 offset0:17 offset1:108
	ds_read2_b32 v[8:9], v26 offset0:71 offset1:162
	;; [unrolled: 1-line block ×7, first 2 shown]
	v_sub_f32_e32 v51, v42, v39
	v_sub_f32_e32 v52, v43, v38
	v_add_f32_e32 v38, v38, v43
	v_add_f32_e32 v39, v39, v42
	v_sub_f32_e32 v42, v58, v55
	v_sub_f32_e32 v43, v60, v57
	v_add_f32_e32 v61, v56, v59
	v_sub_f32_e32 v56, v59, v56
	v_add_f32_e32 v57, v57, v60
	v_add_f32_e32 v55, v55, v58
	s_waitcnt lgkmcnt(0)
	s_barrier
	buffer_gl0_inv
	ds_write2_b32 v41, v37, v51 offset1:13
	ds_write2_b32 v41, v52, v53 offset0:26 offset1:39
	ds_write2_b32 v41, v54, v38 offset0:52 offset1:65
	ds_write_b32 v41, v39 offset:312
	ds_write2_b32 v40, v5, v42 offset1:13
	ds_write2_b32 v40, v43, v61 offset0:26 offset1:39
	ds_write2_b32 v40, v56, v57 offset0:52 offset1:65
	ds_write_b32 v40, v55 offset:312
	s_and_saveexec_b32 s1, s0
	s_cbranch_execz .LBB0_25
; %bb.24:
	v_add_f32_e32 v5, v45, v49
	v_add_f32_e32 v37, v46, v48
	v_sub_f32_e32 v31, v31, v36
	v_add_f32_e32 v36, v44, v47
	v_sub_f32_e32 v16, v16, v35
	v_sub_f32_e32 v32, v33, v32
	v_add_f32_e32 v33, v37, v5
	v_sub_f32_e32 v35, v37, v5
	v_sub_f32_e32 v5, v5, v36
	;; [unrolled: 1-line block ×3, first 2 shown]
	v_add_f32_e32 v38, v32, v16
	v_add_f32_e32 v33, v36, v33
	v_sub_f32_e32 v36, v32, v16
	v_sub_f32_e32 v32, v31, v32
	;; [unrolled: 1-line block ×3, first 2 shown]
	v_add_f32_e32 v31, v38, v31
	v_mul_f32_e32 v5, 0x3f4a47b2, v5
	v_mul_f32_e32 v38, 0x3d64c772, v37
	;; [unrolled: 1-line block ×3, first 2 shown]
	v_add_f32_e32 v34, v34, v33
	v_mul_f32_e32 v39, 0x3f5ff5aa, v16
	v_fmamk_f32 v37, v37, 0x3d64c772, v5
	v_fma_f32 v38, 0x3f3bfb3b, v35, -v38
	v_fma_f32 v5, 0xbf3bfb3b, v35, -v5
	v_fmamk_f32 v35, v32, 0x3eae86e6, v36
	v_fma_f32 v16, 0x3f5ff5aa, v16, -v36
	v_mov_b32_e32 v36, 2
	v_fmamk_f32 v33, v33, 0xbf955555, v34
	v_fma_f32 v32, 0xbeae86e6, v32, -v39
	v_fmac_f32_e32 v35, 0x3ee1c552, v31
	v_fmac_f32_e32 v16, 0x3ee1c552, v31
	v_lshlrev_b32_sdwa v17, v36, v17 dst_sel:DWORD dst_unused:UNUSED_PAD src0_sel:DWORD src1_sel:WORD_0
	v_add_f32_e32 v37, v37, v33
	v_add_f32_e32 v38, v38, v33
	;; [unrolled: 1-line block ×3, first 2 shown]
	v_fmac_f32_e32 v32, 0x3ee1c552, v31
	v_add3_u32 v17, 0, v17, v74
	v_sub_f32_e32 v31, v37, v35
	v_add_f32_e32 v36, v16, v38
	v_sub_f32_e32 v16, v38, v16
	v_sub_f32_e32 v33, v5, v32
	v_add_nc_u32_e32 v38, 0x1200, v17
	v_add_nc_u32_e32 v39, 0x1400, v17
	v_add_f32_e32 v5, v32, v5
	v_add_f32_e32 v32, v35, v37
	ds_write2_b32 v38, v34, v31 offset0:122 offset1:135
	ds_write2_b32 v39, v33, v36 offset0:20 offset1:33
	;; [unrolled: 1-line block ×3, first 2 shown]
	ds_write_b32 v17, v32 offset:5408
.LBB0_25:
	s_or_b32 exec_lo, exec_lo, s1
	v_mov_b32_e32 v5, 0
	s_waitcnt lgkmcnt(0)
	s_barrier
	buffer_gl0_inv
	v_add_nc_u32_e32 v61, 0x200, v50
	v_lshlrev_b64 v[16:17], 3, v[4:5]
	v_mov_b32_e32 v4, 0x6817
	v_add_nc_u32_e32 v62, 0xa00, v50
	v_mul_u32_u24_sdwa v4, v23, v4 dst_sel:DWORD dst_unused:UNUSED_PAD src0_sel:WORD_0 src1_sel:DWORD
	v_add_co_u32 v16, s0, s8, v16
	v_add_co_ci_u32_e64 v17, s0, s9, v17, s0
	v_lshrrev_b32_e32 v4, 16, v4
	s_clause 0x1
	global_load_dwordx4 v[31:34], v[16:17], off offset:624
	global_load_dwordx4 v[35:38], v[16:17], off offset:640
	v_sub_nc_u16 v16, v23, v4
	v_lshrrev_b16 v16, 1, v16
	v_add_nc_u16 v4, v16, v4
	v_mov_b32_e32 v16, 5
	v_lshrrev_b16 v4, 6, v4
	v_mul_lo_u16 v4, 0x5b, v4
	v_sub_nc_u16 v17, v23, v4
	v_lshlrev_b32_sdwa v4, v16, v17 dst_sel:DWORD dst_unused:UNUSED_PAD src0_sel:DWORD src1_sel:WORD_0
	v_mov_b32_e32 v16, 2
	s_clause 0x1
	global_load_dwordx4 v[39:42], v4, s[8:9] offset:624
	global_load_dwordx4 v[43:46], v4, s[8:9] offset:640
	ds_read2_b32 v[47:48], v24 offset0:17 offset1:108
	ds_read2_b32 v[51:52], v26 offset0:71 offset1:162
	;; [unrolled: 1-line block ×4, first 2 shown]
	ds_read_b32 v4, v1
	v_lshlrev_b32_sdwa v49, v16, v17 dst_sel:DWORD dst_unused:UNUSED_PAD src0_sel:DWORD src1_sel:WORD_0
	ds_read2_b32 v[16:17], v50 offset0:91 offset1:182
	ds_read2_b32 v[57:58], v25 offset0:125 offset1:216
	;; [unrolled: 1-line block ×3, first 2 shown]
	s_waitcnt vmcnt(0) lgkmcnt(0)
	s_barrier
	buffer_gl0_inv
	v_add3_u32 v49, 0, v49, v74
	v_add_nc_u32_e32 v63, 0xc00, v49
	v_add_nc_u32_e32 v64, 0x1000, v49
	v_mul_f32_e32 v65, v47, v32
	v_mul_f32_e32 v66, v18, v32
	;; [unrolled: 1-line block ×15, first 2 shown]
	v_fma_f32 v18, v18, v31, -v65
	v_fmac_f32_e32 v66, v47, v31
	v_fma_f32 v9, v9, v33, -v67
	v_fma_f32 v20, v20, v35, -v69
	;; [unrolled: 1-line block ×3, first 2 shown]
	v_fmac_f32_e32 v32, v48, v31
	v_fmac_f32_e32 v38, v59, v37
	v_mul_f32_e32 v36, v21, v36
	v_fma_f32 v19, v19, v31, -v73
	v_fma_f32 v14, v14, v33, -v74
	;; [unrolled: 1-line block ×4, first 2 shown]
	v_fmac_f32_e32 v68, v52, v33
	v_fmac_f32_e32 v70, v53, v35
	;; [unrolled: 1-line block ×4, first 2 shown]
	v_add_f32_e32 v31, v30, v18
	v_add_f32_e32 v33, v9, v20
	v_sub_f32_e32 v47, v18, v9
	v_sub_f32_e32 v48, v11, v20
	v_add_f32_e32 v56, v4, v66
	v_add_f32_e32 v87, v32, v38
	v_fmac_f32_e32 v36, v54, v35
	v_add_f32_e32 v52, v18, v11
	v_add_f32_e32 v73, v6, v19
	;; [unrolled: 1-line block ×4, first 2 shown]
	v_sub_f32_e32 v35, v66, v72
	v_sub_f32_e32 v37, v68, v70
	v_sub_f32_e32 v53, v9, v18
	v_add_f32_e32 v57, v68, v70
	v_sub_f32_e32 v59, v9, v20
	v_sub_f32_e32 v65, v66, v68
	v_add_f32_e32 v69, v66, v72
	v_sub_f32_e32 v66, v68, v66
	v_sub_f32_e32 v84, v14, v21
	v_add_f32_e32 v9, v31, v9
	v_fma_f32 v31, -0.5, v33, v30
	v_add_f32_e32 v33, v47, v48
	v_add_f32_e32 v48, v56, v68
	v_fma_f32 v68, -0.5, v87, v16
	v_sub_f32_e32 v54, v20, v11
	v_sub_f32_e32 v71, v70, v72
	;; [unrolled: 1-line block ×3, first 2 shown]
	v_add_f32_e32 v82, v16, v32
	v_add_f32_e32 v83, v34, v36
	v_sub_f32_e32 v85, v32, v34
	v_sub_f32_e32 v32, v34, v32
	v_sub_f32_e32 v88, v36, v38
	v_fmac_f32_e32 v30, -0.5, v52
	v_sub_f32_e32 v76, v34, v36
	v_sub_f32_e32 v77, v19, v14
	;; [unrolled: 1-line block ×3, first 2 shown]
	v_add_f32_e32 v14, v73, v14
	v_fma_f32 v56, -0.5, v74, v6
	v_fma_f32 v6, -0.5, v79, v6
	v_sub_f32_e32 v19, v19, v12
	v_add_f32_e32 v9, v9, v20
	v_fmamk_f32 v20, v35, 0x3f737871, v31
	v_fmamk_f32 v73, v84, 0x3f737871, v68
	v_fmac_f32_e32 v68, 0xbf737871, v84
	v_add_f32_e32 v47, v53, v54
	v_add_f32_e32 v54, v66, v71
	v_fma_f32 v66, -0.5, v83, v16
	v_add_f32_e32 v16, v32, v88
	v_fmamk_f32 v32, v37, 0xbf737871, v30
	v_fmac_f32_e32 v30, 0x3f737871, v37
	v_fmac_f32_e32 v31, 0xbf737871, v35
	v_sub_f32_e32 v67, v72, v70
	v_sub_f32_e32 v78, v12, v21
	;; [unrolled: 1-line block ×3, first 2 shown]
	v_add_f32_e32 v14, v14, v21
	v_fmamk_f32 v21, v75, 0x3f737871, v56
	v_fmamk_f32 v71, v76, 0xbf737871, v6
	v_fmac_f32_e32 v56, 0xbf737871, v75
	v_fmac_f32_e32 v6, 0x3f737871, v76
	v_add_f32_e32 v34, v82, v34
	v_fmac_f32_e32 v20, 0x3f167918, v37
	v_fmac_f32_e32 v73, 0xbf167918, v19
	v_fmac_f32_e32 v68, 0x3f167918, v19
	v_fma_f32 v52, -0.5, v57, v4
	v_fmac_f32_e32 v4, -0.5, v69
	v_fmac_f32_e32 v32, 0x3f167918, v35
	v_fmac_f32_e32 v30, 0xbf167918, v35
	;; [unrolled: 1-line block ×3, first 2 shown]
	v_add_f32_e32 v53, v65, v67
	v_add_f32_e32 v57, v77, v78
	;; [unrolled: 1-line block ×3, first 2 shown]
	v_fmac_f32_e32 v21, 0x3f167918, v76
	v_fmac_f32_e32 v71, 0x3f167918, v75
	;; [unrolled: 1-line block ×4, first 2 shown]
	v_sub_f32_e32 v18, v18, v11
	v_sub_f32_e32 v86, v38, v36
	v_add_f32_e32 v34, v34, v36
	v_fmamk_f32 v36, v19, 0xbf737871, v66
	v_fmac_f32_e32 v66, 0x3f737871, v19
	v_add_f32_e32 v9, v9, v11
	v_add_f32_e32 v11, v14, v12
	v_fmac_f32_e32 v20, 0x3e9e377a, v33
	v_fmac_f32_e32 v73, 0x3e9e377a, v16
	;; [unrolled: 1-line block ×3, first 2 shown]
	v_mul_f32_e32 v12, v51, v40
	v_mul_f32_e32 v16, v58, v42
	;; [unrolled: 1-line block ×3, first 2 shown]
	v_add_f32_e32 v48, v48, v70
	v_fmamk_f32 v70, v59, 0x3f737871, v4
	v_fmac_f32_e32 v4, 0xbf737871, v59
	v_fmac_f32_e32 v32, 0x3e9e377a, v47
	v_fmac_f32_e32 v30, 0x3e9e377a, v47
	v_mul_f32_e32 v37, v60, v46
	v_fmac_f32_e32 v31, 0x3e9e377a, v33
	v_fmac_f32_e32 v21, 0x3e9e377a, v57
	;; [unrolled: 1-line block ×5, first 2 shown]
	v_add_f32_e32 v34, v34, v38
	v_mul_f32_e32 v14, v8, v40
	v_mul_f32_e32 v38, v13, v46
	ds_write2_b32 v50, v9, v20 offset1:91
	ds_write2_b32 v61, v32, v30 offset0:54 offset1:145
	ds_write2_b32 v24, v31, v11 offset0:108 offset1:199
	;; [unrolled: 1-line block ×4, first 2 shown]
	v_fma_f32 v6, v8, v39, -v12
	v_fma_f32 v8, v15, v41, -v16
	;; [unrolled: 1-line block ×3, first 2 shown]
	v_fmamk_f32 v69, v18, 0xbf737871, v52
	v_fmac_f32_e32 v52, 0x3f737871, v18
	v_fmac_f32_e32 v70, 0xbf167918, v18
	;; [unrolled: 1-line block ×3, first 2 shown]
	v_mul_f32_e32 v18, v15, v42
	v_mul_f32_e32 v33, v10, v44
	v_fma_f32 v10, v13, v45, -v37
	v_fmac_f32_e32 v14, v51, v39
	v_fmac_f32_e32 v38, v60, v45
	v_add_f32_e32 v11, v7, v6
	v_add_f32_e32 v12, v8, v9
	v_fmac_f32_e32 v18, v58, v41
	v_fmac_f32_e32 v33, v55, v43
	v_add_f32_e32 v20, v6, v10
	v_sub_f32_e32 v13, v14, v38
	v_sub_f32_e32 v16, v6, v8
	;; [unrolled: 1-line block ×4, first 2 shown]
	v_add_f32_e32 v8, v11, v8
	v_fma_f32 v11, -0.5, v12, v7
	v_sub_f32_e32 v15, v18, v33
	v_sub_f32_e32 v19, v10, v9
	;; [unrolled: 1-line block ×3, first 2 shown]
	v_add_f32_e32 v31, v17, v14
	v_add_f32_e32 v32, v18, v33
	v_sub_f32_e32 v39, v14, v18
	v_add_f32_e32 v41, v14, v38
	v_sub_f32_e32 v14, v18, v14
	v_sub_f32_e32 v42, v33, v38
	v_fmac_f32_e32 v7, -0.5, v20
	v_add_f32_e32 v8, v8, v9
	v_fmamk_f32 v9, v13, 0x3f737871, v11
	v_add_f32_e32 v12, v16, v19
	v_add_f32_e32 v16, v21, v30
	v_fma_f32 v30, -0.5, v32, v17
	v_add_f32_e32 v32, v14, v42
	v_fmamk_f32 v14, v15, 0xbf737871, v7
	v_fmac_f32_e32 v7, 0x3f737871, v15
	v_fmac_f32_e32 v11, 0xbf737871, v13
	v_sub_f32_e32 v40, v38, v33
	v_fmac_f32_e32 v17, -0.5, v41
	v_fmac_f32_e32 v9, 0x3f167918, v15
	v_fmac_f32_e32 v14, 0x3f167918, v13
	;; [unrolled: 1-line block ×4, first 2 shown]
	v_sub_f32_e32 v6, v6, v10
	v_add_f32_e32 v18, v31, v18
	v_add_f32_e32 v31, v39, v40
	v_fmamk_f32 v40, v37, 0x3f737871, v17
	v_fmac_f32_e32 v17, 0xbf737871, v37
	v_add_f32_e32 v8, v8, v10
	v_fmac_f32_e32 v9, 0x3e9e377a, v12
	v_fmac_f32_e32 v14, 0x3e9e377a, v16
	;; [unrolled: 1-line block ×4, first 2 shown]
	v_add_f32_e32 v33, v18, v33
	v_fmamk_f32 v39, v6, 0xbf737871, v30
	v_fmac_f32_e32 v30, 0x3f737871, v6
	v_fmac_f32_e32 v40, 0xbf167918, v6
	;; [unrolled: 1-line block ×3, first 2 shown]
	ds_write2_b32 v63, v8, v9 offset0:142 offset1:233
	ds_write2_b32 v64, v14, v7 offset0:68 offset1:159
	ds_write_b32 v49, v11 offset:5096
	s_waitcnt lgkmcnt(0)
	s_barrier
	buffer_gl0_inv
	ds_read_b32 v16, v1
	ds_read2_b32 v[8:9], v26 offset0:71 offset1:162
	ds_read2_b32 v[10:11], v27 offset0:51 offset1:142
	;; [unrolled: 1-line block ×7, first 2 shown]
	v_fmac_f32_e32 v69, 0xbf167918, v59
	v_fmac_f32_e32 v52, 0x3f167918, v59
	v_add_f32_e32 v67, v85, v86
	v_fmac_f32_e32 v36, 0xbf167918, v84
	v_fmac_f32_e32 v66, 0x3f167918, v84
	v_add_f32_e32 v35, v48, v72
	v_fmac_f32_e32 v69, 0x3e9e377a, v53
	v_fmac_f32_e32 v39, 0xbf167918, v37
	;; [unrolled: 1-line block ×8, first 2 shown]
	v_add_f32_e32 v26, v33, v38
	v_fmac_f32_e32 v39, 0x3e9e377a, v31
	v_fmac_f32_e32 v30, 0x3e9e377a, v31
	;; [unrolled: 1-line block ×4, first 2 shown]
	s_waitcnt lgkmcnt(0)
	s_barrier
	buffer_gl0_inv
	ds_write2_b32 v50, v35, v69 offset1:91
	ds_write2_b32 v61, v70, v4 offset0:54 offset1:145
	ds_write2_b32 v24, v52, v34 offset0:108 offset1:199
	;; [unrolled: 1-line block ×6, first 2 shown]
	ds_write_b32 v49, v30 offset:5096
	s_waitcnt lgkmcnt(0)
	s_barrier
	buffer_gl0_inv
	s_and_saveexec_b32 s0, vcc_lo
	s_cbranch_execz .LBB0_27
; %bb.26:
	v_add_nc_u32_e32 v17, 0x16c, v0
	v_add_nc_u32_e32 v60, 0x111, v0
	v_mul_hi_u32 v54, 0x20120121, v23
	v_add_nc_u32_e32 v48, 0x400, v50
	v_add_nc_u32_e32 v49, 0x800, v50
	v_lshlrev_b32_e32 v4, 1, v17
	v_mul_hi_u32 v56, 0x20120121, v17
	v_add_nc_u32_e32 v51, 0xe00, v50
	ds_read2_b32 v[44:45], v50 offset0:91 offset1:182
	v_add_nc_u32_e32 v52, 0x600, v50
	v_lshlrev_b64 v[24:25], 3, v[4:5]
	v_lshlrev_b32_e32 v4, 1, v60
	v_sub_nc_u32_e32 v53, v23, v54
	ds_read_b32 v76, v1
	v_sub_nc_u32_e32 v58, v17, v56
	v_mov_b32_e32 v1, v5
	v_add_co_u32 v24, vcc_lo, s8, v24
	v_add_co_ci_u32_e32 v25, vcc_lo, s9, v25, vcc_lo
	v_lshlrev_b64 v[28:29], 3, v[4:5]
	v_add_co_u32 v24, vcc_lo, 0x800, v24
	v_lshlrev_b32_e32 v4, 1, v23
	v_add_co_ci_u32_e32 v25, vcc_lo, 0, v25, vcc_lo
	v_add_co_u32 v28, vcc_lo, s8, v28
	v_add_co_ci_u32_e32 v29, vcc_lo, s9, v29, vcc_lo
	v_lshlrev_b64 v[32:33], 3, v[4:5]
	v_add_co_u32 v28, vcc_lo, 0x800, v28
	v_lshlrev_b32_e32 v4, 1, v22
	v_add_co_ci_u32_e32 v29, vcc_lo, 0, v29, vcc_lo
	v_add_co_u32 v32, vcc_lo, s8, v32
	v_add_co_ci_u32_e32 v33, vcc_lo, s9, v33, vcc_lo
	v_lshlrev_b64 v[36:37], 3, v[4:5]
	v_add_co_u32 v32, vcc_lo, 0x800, v32
	v_add_co_ci_u32_e32 v33, vcc_lo, 0, v33, vcc_lo
	s_clause 0x1
	global_load_dwordx4 v[24:27], v[24:25], off offset:1488
	global_load_dwordx4 v[28:31], v[28:29], off offset:1488
	v_add_co_u32 v4, vcc_lo, s8, v36
	v_add_co_ci_u32_e32 v22, vcc_lo, s9, v37, vcc_lo
	global_load_dwordx4 v[32:35], v[32:33], off offset:1488
	v_add_co_u32 v36, vcc_lo, 0x800, v4
	v_lshlrev_b32_e32 v4, 1, v0
	v_add_co_ci_u32_e32 v37, vcc_lo, 0, v22, vcc_lo
	v_lshrrev_b32_e32 v55, 1, v53
	v_lshlrev_b64 v[0:1], 3, v[0:1]
	v_lshlrev_b64 v[40:41], 3, v[4:5]
	global_load_dwordx4 v[36:39], v[36:37], off offset:1488
	v_add_nc_u32_e32 v54, v55, v54
	v_add_co_u32 v4, vcc_lo, s8, v40
	v_add_co_ci_u32_e32 v22, vcc_lo, s9, v41, vcc_lo
	v_add_co_u32 v40, vcc_lo, 0x800, v4
	v_add_co_ci_u32_e32 v41, vcc_lo, 0, v22, vcc_lo
	v_add_nc_u32_e32 v4, 0xc00, v50
	v_add_co_u32 v70, vcc_lo, s2, v2
	global_load_dwordx4 v[40:43], v[40:41], off offset:1488
	v_add_co_ci_u32_e32 v71, vcc_lo, s3, v3, vcc_lo
	ds_read2_b32 v[2:3], v4 offset0:51 offset1:142
	v_mul_hi_u32 v4, 0x20120121, v60
	v_add_nc_u32_e32 v22, 0x1000, v50
	v_add_co_u32 v0, vcc_lo, v70, v0
	v_add_co_ci_u32_e32 v1, vcc_lo, v71, v1, vcc_lo
	ds_read2_b32 v[46:47], v22 offset0:159 offset1:250
	ds_read2_b32 v[22:23], v48 offset0:17 offset1:108
	;; [unrolled: 1-line block ×4, first 2 shown]
	v_sub_nc_u32_e32 v57, v60, v4
	ds_read2_b32 v[52:53], v52 offset0:71 offset1:162
	v_lshrrev_b32_e32 v55, 1, v57
	v_lshrrev_b32_e32 v57, 1, v58
	;; [unrolled: 1-line block ×3, first 2 shown]
	v_add_co_u32 v54, vcc_lo, 0x800, v0
	v_add_nc_u32_e32 v4, v55, v4
	v_add_nc_u32_e32 v59, v57, v56
	v_add_co_ci_u32_e32 v55, vcc_lo, 0, v1, vcc_lo
	v_add_co_u32 v56, vcc_lo, 0x1800, v0
	v_lshrrev_b32_e32 v61, 8, v4
	v_mul_u32_u24_e32 v4, 0x38e, v58
	v_lshrrev_b32_e32 v64, 8, v59
	v_add_co_ci_u32_e32 v57, vcc_lo, 0, v1, vcc_lo
	v_lshlrev_b64 v[58:59], 3, v[4:5]
	v_mad_u32_u24 v4, 0x38e, v61, v60
	v_add_co_u32 v60, vcc_lo, 0x1000, v0
	v_add_co_ci_u32_e32 v61, vcc_lo, 0, v1, vcc_lo
	v_lshlrev_b64 v[62:63], 3, v[4:5]
	v_mad_u32_u24 v4, 0x38e, v64, v17
	v_add_co_u32 v58, vcc_lo, v0, v58
	v_add_co_ci_u32_e32 v59, vcc_lo, v1, v59, vcc_lo
	v_lshlrev_b64 v[4:5], 3, v[4:5]
	v_add_co_u32 v64, vcc_lo, 0x1000, v58
	v_add_co_ci_u32_e32 v65, vcc_lo, 0, v59, vcc_lo
	v_add_co_u32 v62, vcc_lo, v70, v62
	v_add_co_ci_u32_e32 v63, vcc_lo, v71, v63, vcc_lo
	;; [unrolled: 2-line block ×8, first 2 shown]
	s_waitcnt vmcnt(4) lgkmcnt(5)
	v_mul_f32_e32 v17, v2, v25
	s_waitcnt lgkmcnt(4)
	v_mul_f32_e32 v77, v47, v27
	v_mul_f32_e32 v25, v10, v25
	v_mul_f32_e32 v27, v21, v27
	v_fma_f32 v10, v10, v24, -v17
	v_fma_f32 v17, v21, v26, -v77
	v_fmac_f32_e32 v25, v24, v2
	v_fmac_f32_e32 v27, v26, v47
	s_waitcnt vmcnt(3) lgkmcnt(2)
	v_mul_f32_e32 v2, v49, v29
	v_mul_f32_e32 v21, v46, v31
	;; [unrolled: 1-line block ×4, first 2 shown]
	v_sub_f32_e32 v31, v10, v17
	v_add_f32_e32 v24, v25, v27
	v_add_f32_e32 v47, v10, v17
	v_sub_f32_e32 v77, v25, v27
	v_add_f32_e32 v25, v25, v23
	v_add_f32_e32 v10, v15, v10
	v_fma_f32 v2, v19, v28, -v2
	v_fma_f32 v21, v20, v30, -v21
	v_fmac_f32_e32 v26, v28, v49
	v_fmac_f32_e32 v29, v30, v46
	s_waitcnt vmcnt(2)
	v_mul_f32_e32 v28, v48, v33
	s_waitcnt lgkmcnt(1)
	v_mul_f32_e32 v30, v51, v35
	v_mul_f32_e32 v33, v18, v33
	;; [unrolled: 1-line block ×3, first 2 shown]
	v_fma_f32 v20, -0.5, v24, v23
	v_add_f32_e32 v24, v27, v25
	v_add_f32_e32 v23, v10, v17
	v_sub_f32_e32 v25, v2, v21
	v_add_f32_e32 v10, v26, v29
	v_add_f32_e32 v27, v2, v21
	v_sub_f32_e32 v46, v26, v29
	v_add_f32_e32 v26, v26, v22
	v_add_f32_e32 v2, v14, v2
	v_fma_f32 v28, v18, v32, -v28
	v_fma_f32 v30, v13, v34, -v30
	v_fmac_f32_e32 v33, v32, v48
	v_fmac_f32_e32 v35, v34, v51
	s_waitcnt vmcnt(1) lgkmcnt(0)
	v_mul_f32_e32 v13, v53, v37
	v_mul_f32_e32 v32, v50, v39
	;; [unrolled: 1-line block ×4, first 2 shown]
	v_fma_f32 v19, -0.5, v47, v15
	v_fmamk_f32 v18, v31, 0x3f5db3d7, v20
	v_fmac_f32_e32 v20, 0xbf5db3d7, v31
	v_fma_f32 v15, -0.5, v10, v22
	v_fma_f32 v14, -0.5, v27, v14
	v_add_f32_e32 v22, v29, v26
	v_add_f32_e32 v21, v2, v21
	v_sub_f32_e32 v27, v28, v30
	v_add_f32_e32 v2, v33, v35
	v_add_f32_e32 v26, v28, v30
	v_sub_f32_e32 v29, v33, v35
	v_add_f32_e32 v31, v33, v45
	v_add_f32_e32 v28, v7, v28
	v_fma_f32 v33, v9, v36, -v13
	v_fma_f32 v32, v12, v38, -v32
	v_fmac_f32_e32 v34, v36, v53
	v_fmac_f32_e32 v37, v38, v50
	s_waitcnt vmcnt(0)
	v_mul_f32_e32 v36, v52, v41
	v_mul_f32_e32 v38, v3, v43
	v_mul_f32_e32 v39, v8, v41
	v_mul_f32_e32 v41, v11, v43
	v_fmamk_f32 v10, v25, 0x3f5db3d7, v15
	v_fmac_f32_e32 v15, 0xbf5db3d7, v25
	v_fma_f32 v13, -0.5, v2, v45
	v_fma_f32 v12, -0.5, v26, v7
	v_add_f32_e32 v26, v35, v31
	v_add_f32_e32 v25, v28, v30
	v_sub_f32_e32 v31, v33, v32
	v_add_f32_e32 v7, v34, v37
	v_add_f32_e32 v28, v33, v32
	;; [unrolled: 1-line block ×3, first 2 shown]
	v_fma_f32 v8, v8, v40, -v36
	v_fma_f32 v11, v11, v42, -v38
	v_fmac_f32_e32 v39, v40, v52
	v_fmac_f32_e32 v41, v42, v3
	v_add_f32_e32 v30, v34, v44
	v_fmamk_f32 v3, v27, 0x3f5db3d7, v13
	v_fmac_f32_e32 v13, 0xbf5db3d7, v27
	v_fma_f32 v7, -0.5, v7, v44
	v_add_f32_e32 v27, v33, v32
	v_add_f32_e32 v32, v39, v41
	;; [unrolled: 1-line block ×3, first 2 shown]
	v_sub_f32_e32 v35, v34, v37
	v_sub_f32_e32 v36, v8, v11
	v_add_f32_e32 v34, v39, v76
	v_add_f32_e32 v8, v16, v8
	v_fma_f32 v6, -0.5, v28, v6
	v_add_f32_e32 v28, v37, v30
	v_sub_f32_e32 v37, v39, v41
	v_fmamk_f32 v30, v31, 0x3f5db3d7, v7
	v_fmac_f32_e32 v7, 0xbf5db3d7, v31
	v_fma_f32 v32, -0.5, v32, v76
	v_fma_f32 v31, -0.5, v33, v16
	v_fmamk_f32 v2, v29, 0xbf5db3d7, v12
	v_add_f32_e32 v34, v41, v34
	v_add_f32_e32 v33, v8, v11
	v_fmac_f32_e32 v12, 0x3f5db3d7, v29
	v_fmamk_f32 v29, v35, 0xbf5db3d7, v6
	v_fmac_f32_e32 v6, 0x3f5db3d7, v35
	global_store_dwordx2 v[0:1], v[27:28], off offset:728
	v_fmamk_f32 v28, v36, 0x3f5db3d7, v32
	v_fmamk_f32 v27, v37, 0xbf5db3d7, v31
	v_fmac_f32_e32 v32, 0xbf5db3d7, v36
	v_fmac_f32_e32 v31, 0x3f5db3d7, v37
	v_fmamk_f32 v17, v77, 0xbf5db3d7, v19
	v_fmac_f32_e32 v19, 0x3f5db3d7, v77
	v_fmamk_f32 v9, v46, 0xbf5db3d7, v14
	v_fmac_f32_e32 v14, 0x3f5db3d7, v46
	global_store_dwordx2 v[66:67], v[2:3], off offset:544
	global_store_dwordx2 v[0:1], v[33:34], off
	global_store_dwordx2 v[60:61], v[6:7], off offset:272
	global_store_dwordx2 v[56:57], v[29:30], off offset:1864
	global_store_dwordx2 v[54:55], v[31:32], off offset:1592
	global_store_dwordx2 v[56:57], v[27:28], off offset:1136
	global_store_dwordx2 v[58:59], v[25:26], off offset:1456
	global_store_dwordx2 v[64:65], v[12:13], off offset:1000
	global_store_dwordx2 v[62:63], v[21:22], off
	global_store_dwordx2 v[68:69], v[14:15], off offset:1592
	global_store_dwordx2 v[70:71], v[9:10], off offset:1136
	global_store_dwordx2 v[4:5], v[23:24], off
	global_store_dwordx2 v[72:73], v[19:20], off offset:1592
	global_store_dwordx2 v[74:75], v[17:18], off offset:1136
.LBB0_27:
	s_endpgm
	.section	.rodata,"a",@progbits
	.p2align	6, 0x0
	.amdhsa_kernel fft_rtc_fwd_len1365_factors_13_7_5_3_wgs_182_tpt_91_halfLds_sp_ip_CI_unitstride_sbrr_dirReg
		.amdhsa_group_segment_fixed_size 0
		.amdhsa_private_segment_fixed_size 0
		.amdhsa_kernarg_size 88
		.amdhsa_user_sgpr_count 6
		.amdhsa_user_sgpr_private_segment_buffer 1
		.amdhsa_user_sgpr_dispatch_ptr 0
		.amdhsa_user_sgpr_queue_ptr 0
		.amdhsa_user_sgpr_kernarg_segment_ptr 1
		.amdhsa_user_sgpr_dispatch_id 0
		.amdhsa_user_sgpr_flat_scratch_init 0
		.amdhsa_user_sgpr_private_segment_size 0
		.amdhsa_wavefront_size32 1
		.amdhsa_uses_dynamic_stack 0
		.amdhsa_system_sgpr_private_segment_wavefront_offset 0
		.amdhsa_system_sgpr_workgroup_id_x 1
		.amdhsa_system_sgpr_workgroup_id_y 0
		.amdhsa_system_sgpr_workgroup_id_z 0
		.amdhsa_system_sgpr_workgroup_info 0
		.amdhsa_system_vgpr_workitem_id 0
		.amdhsa_next_free_vgpr 158
		.amdhsa_next_free_sgpr 21
		.amdhsa_reserve_vcc 1
		.amdhsa_reserve_flat_scratch 0
		.amdhsa_float_round_mode_32 0
		.amdhsa_float_round_mode_16_64 0
		.amdhsa_float_denorm_mode_32 3
		.amdhsa_float_denorm_mode_16_64 3
		.amdhsa_dx10_clamp 1
		.amdhsa_ieee_mode 1
		.amdhsa_fp16_overflow 0
		.amdhsa_workgroup_processor_mode 1
		.amdhsa_memory_ordered 1
		.amdhsa_forward_progress 0
		.amdhsa_shared_vgpr_count 0
		.amdhsa_exception_fp_ieee_invalid_op 0
		.amdhsa_exception_fp_denorm_src 0
		.amdhsa_exception_fp_ieee_div_zero 0
		.amdhsa_exception_fp_ieee_overflow 0
		.amdhsa_exception_fp_ieee_underflow 0
		.amdhsa_exception_fp_ieee_inexact 0
		.amdhsa_exception_int_div_zero 0
	.end_amdhsa_kernel
	.text
.Lfunc_end0:
	.size	fft_rtc_fwd_len1365_factors_13_7_5_3_wgs_182_tpt_91_halfLds_sp_ip_CI_unitstride_sbrr_dirReg, .Lfunc_end0-fft_rtc_fwd_len1365_factors_13_7_5_3_wgs_182_tpt_91_halfLds_sp_ip_CI_unitstride_sbrr_dirReg
                                        ; -- End function
	.section	.AMDGPU.csdata,"",@progbits
; Kernel info:
; codeLenInByte = 13652
; NumSgprs: 23
; NumVgprs: 158
; ScratchSize: 0
; MemoryBound: 0
; FloatMode: 240
; IeeeMode: 1
; LDSByteSize: 0 bytes/workgroup (compile time only)
; SGPRBlocks: 2
; VGPRBlocks: 19
; NumSGPRsForWavesPerEU: 23
; NumVGPRsForWavesPerEU: 158
; Occupancy: 6
; WaveLimiterHint : 1
; COMPUTE_PGM_RSRC2:SCRATCH_EN: 0
; COMPUTE_PGM_RSRC2:USER_SGPR: 6
; COMPUTE_PGM_RSRC2:TRAP_HANDLER: 0
; COMPUTE_PGM_RSRC2:TGID_X_EN: 1
; COMPUTE_PGM_RSRC2:TGID_Y_EN: 0
; COMPUTE_PGM_RSRC2:TGID_Z_EN: 0
; COMPUTE_PGM_RSRC2:TIDIG_COMP_CNT: 0
	.text
	.p2alignl 6, 3214868480
	.fill 48, 4, 3214868480
	.type	__hip_cuid_5790791da5bdbf99,@object ; @__hip_cuid_5790791da5bdbf99
	.section	.bss,"aw",@nobits
	.globl	__hip_cuid_5790791da5bdbf99
__hip_cuid_5790791da5bdbf99:
	.byte	0                               ; 0x0
	.size	__hip_cuid_5790791da5bdbf99, 1

	.ident	"AMD clang version 19.0.0git (https://github.com/RadeonOpenCompute/llvm-project roc-6.4.0 25133 c7fe45cf4b819c5991fe208aaa96edf142730f1d)"
	.section	".note.GNU-stack","",@progbits
	.addrsig
	.addrsig_sym __hip_cuid_5790791da5bdbf99
	.amdgpu_metadata
---
amdhsa.kernels:
  - .args:
      - .actual_access:  read_only
        .address_space:  global
        .offset:         0
        .size:           8
        .value_kind:     global_buffer
      - .offset:         8
        .size:           8
        .value_kind:     by_value
      - .actual_access:  read_only
        .address_space:  global
        .offset:         16
        .size:           8
        .value_kind:     global_buffer
      - .actual_access:  read_only
        .address_space:  global
        .offset:         24
        .size:           8
        .value_kind:     global_buffer
      - .offset:         32
        .size:           8
        .value_kind:     by_value
      - .actual_access:  read_only
        .address_space:  global
        .offset:         40
        .size:           8
        .value_kind:     global_buffer
      - .actual_access:  read_only
        .address_space:  global
        .offset:         48
        .size:           8
        .value_kind:     global_buffer
      - .offset:         56
        .size:           4
        .value_kind:     by_value
      - .actual_access:  read_only
        .address_space:  global
        .offset:         64
        .size:           8
        .value_kind:     global_buffer
      - .actual_access:  read_only
        .address_space:  global
        .offset:         72
        .size:           8
        .value_kind:     global_buffer
      - .address_space:  global
        .offset:         80
        .size:           8
        .value_kind:     global_buffer
    .group_segment_fixed_size: 0
    .kernarg_segment_align: 8
    .kernarg_segment_size: 88
    .language:       OpenCL C
    .language_version:
      - 2
      - 0
    .max_flat_workgroup_size: 182
    .name:           fft_rtc_fwd_len1365_factors_13_7_5_3_wgs_182_tpt_91_halfLds_sp_ip_CI_unitstride_sbrr_dirReg
    .private_segment_fixed_size: 0
    .sgpr_count:     23
    .sgpr_spill_count: 0
    .symbol:         fft_rtc_fwd_len1365_factors_13_7_5_3_wgs_182_tpt_91_halfLds_sp_ip_CI_unitstride_sbrr_dirReg.kd
    .uniform_work_group_size: 1
    .uses_dynamic_stack: false
    .vgpr_count:     158
    .vgpr_spill_count: 0
    .wavefront_size: 32
    .workgroup_processor_mode: 1
amdhsa.target:   amdgcn-amd-amdhsa--gfx1030
amdhsa.version:
  - 1
  - 2
...

	.end_amdgpu_metadata
